;; amdgpu-corpus repo=ROCm/aiter kind=harvested arch=n/a opt=n/a

/root/src/amdgpu-assembly/repos/ROCm__aiter/hsa/gfx950/fmha_v3_bwd/bwd_hd64_bf16_causal_a32_rtna_pssk_group.co:	file format elf64-amdgpu

Disassembly of section .text:

0000000000004000 <_ZN5aiter55fmha_bwd_hd64_bf16_causal_a32_rtna_pssk_group_recompileE>:
	s_and_b32 s1, s1, 0xffff                                   // 000000004000: 8601FF01 0000FFFF
	s_load_dwordx2 s[32:33], s[0:1], 0x0                       // 000000004008: C0060800 00000000
	s_load_dwordx2 s[36:37], s[0:1], 0x10                      // 000000004010: C0060900 00000010
	s_load_dwordx2 s[40:41], s[0:1], 0x20                      // 000000004018: C0060A00 00000020
	s_load_dwordx2 s[8:9], s[0:1], 0x30                        // 000000004020: C0060200 00000030
	s_load_dwordx2 s[12:13], s[0:1], 0x40                      // 000000004028: C0060300 00000040
	s_load_dwordx2 s[16:17], s[0:1], 0x50                      // 000000004030: C0060400 00000050
	s_load_dwordx2 s[20:21], s[0:1], 0x60                      // 000000004038: C0060500 00000060
	s_load_dwordx2 s[24:25], s[0:1], 0x70                      // 000000004040: C0060600 00000070
	s_load_dwordx2 s[28:29], s[0:1], 0x80                      // 000000004048: C0060700 00000080
	s_load_dword s47, s[0:1], 0x90                             // 000000004050: C0020BC0 00000090
	s_load_dword s48, s[0:1], 0xa0                             // 000000004058: C0020C00 000000A0
	s_load_dword s78, s[0:1], 0xd0                             // 000000004060: C0021380 000000D0
	s_load_dword s5, s[0:1], 0xf0                              // 000000004068: C0020140 000000F0
	s_load_dword s44, s[0:1], 0x100                            // 000000004070: C0020B00 00000100
	s_load_dword s79, s[0:1], 0x110                            // 000000004078: C00213C0 00000110
	s_load_dword s6, s[0:1], 0x130                             // 000000004080: C0020180 00000130
	s_load_dword s52, s[0:1], 0x140                            // 000000004088: C0020D00 00000140
	s_load_dword s80, s[0:1], 0x190                            // 000000004090: C0021400 00000190
	s_load_dword s7, s[0:1], 0x1b0                             // 000000004098: C00201C0 000001B0
	s_load_dword s81, s[0:1], 0x1c0                            // 0000000040A0: C0021440 000001C0
	s_load_dword s51, s[0:1], 0x1e0                            // 0000000040A8: C0020CC0 000001E0
	s_load_dword s82, s[0:1], 0x1f0                            // 0000000040B0: C0021480 000001F0
	s_load_dword s83, s[0:1], 0x210                            // 0000000040B8: C00214C0 00000210
	s_load_dword s53, s[0:1], 0x230                            // 0000000040C0: C0020D40 00000230
	s_load_dword s49, s[0:1], 0x240                            // 0000000040C8: C0020C40 00000240
	s_load_dwordx2 s[88:89], s[0:1], 0x250                     // 0000000040D0: C0061600 00000250
	s_load_dwordx2 s[92:93], s[0:1], 0x260                     // 0000000040D8: C0061700 00000260
	s_load_dwordx2 s[96:97], s[0:1], 0x270                     // 0000000040E0: C0061800 00000270
	s_load_dwordx2 s[100:101], s[0:1], 0x280                   // 0000000040E8: C0061900 00000280
	v_lshrrev_b32_e32 v1, 10, v0                               // 0000000040F0: 2002008A
	v_lshrrev_b32_e32 v2, 10, v1                               // 0000000040F4: 2004028A
	v_and_b32_e32 v2, 0x3ff, v2                                // 0000000040F8: 260404FF 000003FF
	v_and_b32_e32 v1, 0x3ff, v1                                // 000000004100: 260202FF 000003FF
	v_and_b32_e32 v0, 0x3ff, v0                                // 000000004108: 260000FF 000003FF
	v_lshrrev_b32_e32 v3, 6, v0                                // 000000004110: 20060086
	v_and_b32_e32 v0, 63, v0                                   // 000000004114: 260000BF
	s_mov_b32 s2, s2                                           // 000000004118: BE820002
	s_mov_b32 s3, s3                                           // 00000000411C: BE830003
	s_mov_b32 s4, s4                                           // 000000004120: BE840004
	v_readfirstlane_b32 s46, v3                                // 000000004124: 7E5C0503
	s_waitcnt lgkmcnt(0)                                       // 000000004128: BF8CC07F
	s_mul_i32 s60, s4, 4                                       // 00000000412C: 923C8404
	s_add_u32 s88, s60, s88                                    // 000000004130: 8058583C
	s_addc_u32 s89, 0, s89                                     // 000000004134: 82595980
	s_load_dwordx2 s[84:85], s[88:89], 0x0                     // 000000004138: C006152C 00000000
	s_add_u32 s96, s60, s96                                    // 000000004140: 8060603C
	s_addc_u32 s97, 0, s97                                     // 000000004144: 82616180
	s_load_dword s90, s[96:97], 0x0                            // 000000004148: C00216B0 00000000
	s_add_u32 s92, s60, s92                                    // 000000004150: 805C5C3C
	s_addc_u32 s93, 0, s93                                     // 000000004154: 825D5D80
	s_load_dwordx2 s[86:87], s[92:93], 0x0                     // 000000004158: C00615AE 00000000
	s_add_u32 s100, s60, s100                                  // 000000004160: 8064643C
	s_addc_u32 s101, 0, s101                                   // 000000004164: 82656580
	s_load_dword s94, s[100:101], 0x0                          // 000000004168: C00217B2 00000000
	s_mov_b32 s11, 0x20000                                     // 000000004170: BE8B00FF 00020000
	s_mov_b32 s15, 0x20000                                     // 000000004178: BE8F00FF 00020000
	s_mov_b32 s19, 0x20000                                     // 000000004180: BE9300FF 00020000
	s_mov_b32 s23, 0x20000                                     // 000000004188: BE9700FF 00020000
	s_mov_b32 s27, 0x20000                                     // 000000004190: BE9B00FF 00020000
	s_mov_b32 s31, 0x20000                                     // 000000004198: BE9F00FF 00020000
	s_mov_b32 s35, 0x20000                                     // 0000000041A0: BEA300FF 00020000
	s_mov_b32 s39, 0x20000                                     // 0000000041A8: BEA700FF 00020000
	s_mov_b32 s43, 0x20000                                     // 0000000041B0: BEAB00FF 00020000
	s_and_b32 s9, s9, 0xffff                                   // 0000000041B8: 8609FF09 0000FFFF
	s_and_b32 s13, s13, 0xffff                                 // 0000000041C0: 860DFF0D 0000FFFF
	s_and_b32 s17, s17, 0xffff                                 // 0000000041C8: 8611FF11 0000FFFF
	s_and_b32 s21, s21, 0xffff                                 // 0000000041D0: 8615FF15 0000FFFF
	s_and_b32 s25, s25, 0xffff                                 // 0000000041D8: 8619FF19 0000FFFF
	s_and_b32 s29, s29, 0xffff                                 // 0000000041E0: 861DFF1D 0000FFFF
	s_and_b32 s33, s33, 0xffff                                 // 0000000041E8: 8621FF21 0000FFFF
	s_and_b32 s37, s37, 0xffff                                 // 0000000041F0: 8625FF25 0000FFFF
	s_and_b32 s41, s41, 0xffff                                 // 0000000041F8: 8629FF29 0000FFFF
	s_or_b32 s9, s9, 0x40000                                   // 000000004200: 8709FF09 00040000
	s_or_b32 s13, s13, 0x40000                                 // 000000004208: 870DFF0D 00040000
	s_or_b32 s17, s17, 0x40000                                 // 000000004210: 8711FF11 00040000
	s_or_b32 s21, s21, 0x40000                                 // 000000004218: 8715FF15 00040000
	s_or_b32 s25, s25, 0x40000                                 // 000000004220: 8719FF19 00040000
	s_or_b32 s29, s29, 0x40000                                 // 000000004228: 871DFF1D 00040000
	s_or_b32 s33, s33, 0x40000                                 // 000000004230: 8721FF21 00040000
	s_or_b32 s37, s37, 0x40000                                 // 000000004238: 8725FF25 00040000
	s_or_b32 s41, s41, 0x40000                                 // 000000004240: 8729FF29 00040000
	v_accvgpr_write_b32 a159, 0                                // 000000004248: D3D9409F 18000080
	v_mov_b32_e32 v235, 0                                      // 000000004250: 7FD60280
	s_mov_b32 s71, s3                                          // 000000004254: BEC70003
	v_cvt_f32_u32_e32 v32, s44                                 // 000000004258: 7E400C2C
	s_sub_i32 s60, 0, s44                                      // 00000000425C: 81BC2C80
	v_rcp_iflag_f32_e32 v32, v32                               // 000000004260: 7E404720
	s_nop 0                                                    // 000000004264: BF800000
	v_mul_f32_e32 v32, 0x4f7ffffe, v32                         // 000000004268: 0A4040FF 4F7FFFFE
	v_cvt_u32_f32_e32 v32, v32                                 // 000000004270: 7E400F20
	v_mul_lo_u32 v33, s60, v32                                 // 000000004274: D2850021 0002403C
	v_mul_hi_u32 v33, v32, v33                                 // 00000000427C: D2860021 00024320
	v_add_u32_e32 v32, v32, v33                                // 000000004284: 68404320
	v_mul_hi_u32 v32, s71, v32                                 // 000000004288: D2860020 00024047
	v_mul_lo_u32 v33, v32, s44                                 // 000000004290: D2850021 00005920
	v_sub_u32_e32 v35, s71, v33                                // 000000004298: 6A464247
	v_add_u32_e32 v34, 1, v32                                  // 00000000429C: 68444081
	v_cmp_le_u32_e32 vcc, s44, v35                             // 0000000042A0: 7D96462C
	v_subrev_u32_e32 v33, s44, v35                             // 0000000042A4: 6C42462C
	s_nop 0                                                    // 0000000042A8: BF800000
	v_cndmask_b32_e32 v32, v32, v34, vcc                       // 0000000042AC: 00404520
	v_cndmask_b32_e32 v35, v35, v33, vcc                       // 0000000042B0: 00464323
	v_add_u32_e32 v33, 1, v32                                  // 0000000042B4: 68424081
	v_cmp_le_u32_e32 vcc, s44, v35                             // 0000000042B8: 7D96462C
	s_nop 1                                                    // 0000000042BC: BF800001
	v_cndmask_b32_e32 v35, v32, v33, vcc                       // 0000000042C0: 00464320
	s_nop 3                                                    // 0000000042C4: BF800003
	v_readfirstlane_b32 s45, v35                               // 0000000042C8: 7E5A0523
	s_nop 3                                                    // 0000000042CC: BF800003
	s_waitcnt lgkmcnt(0)                                       // 0000000042D0: BF8CC07F
	s_mul_i32 s61, s2, 0x180                                   // 0000000042D4: 923DFF02 00000180
	s_sub_i32 s87, s87, s86                                    // 0000000042DC: 81D75657
	s_mov_b32 s86, s94                                         // 0000000042E0: BED6005E
	s_sub_i32 s85, s85, s84                                    // 0000000042E4: 81D55455
	s_mov_b32 s84, s90                                         // 0000000042E8: BED4005A
	s_cmp_gt_i32 s85, 0                                        // 0000000042EC: BF028055
	s_cbranch_scc0 label_2114                                  // 0000000042F0: BF842033
	s_mov_b32 s59, 0                                           // 0000000042F4: BEBB0080
	s_mov_b32 s58, s85                                         // 0000000042F8: BEBA0055
	s_cmp_ge_i32 s61, s87                                      // 0000000042FC: BF03573D
	s_cbranch_scc1 label_2114                                  // 000000004300: BF85202F
	s_mul_i32 s61, s45, s79                                    // 000000004304: 923D4F2D
	s_mov_b32 s54, s61                                         // 000000004308: BEB6003D
	s_add_u32 s12, s54, s12                                    // 00000000430C: 800C0C36
	s_addc_u32 s13, 0, s13                                     // 000000004310: 820D0D80
	s_mul_i32 s60, s86, s6                                     // 000000004314: 923C0656
	s_mul_hi_u32 s61, s86, s6                                  // 000000004318: 963D0656
	s_and_b32 s61, s61, 0xffff                                 // 00000000431C: 863DFF3D 0000FFFF
	s_add_u32 s12, s12, s60                                    // 000000004324: 800C3C0C
	s_addc_u32 s13, s13, s61                                   // 000000004328: 820D3D0D
	s_mul_i32 s61, s45, s80                                    // 00000000432C: 923D502D
	s_mov_b32 s54, s61                                         // 000000004330: BEB6003D
	s_add_u32 s16, s54, s16                                    // 000000004334: 80101036
	s_addc_u32 s17, 0, s17                                     // 000000004338: 82111180
	s_mul_i32 s60, s86, s7                                     // 00000000433C: 923C0756
	s_mul_hi_u32 s61, s86, s7                                  // 000000004340: 963D0756
	s_and_b32 s61, s61, 0xffff                                 // 000000004344: 863DFF3D 0000FFFF
	s_add_u32 s16, s16, s60                                    // 00000000434C: 80103C10
	s_addc_u32 s17, s17, s61                                   // 000000004350: 82113D11
	s_mul_i32 s61, s3, s78                                     // 000000004354: 923D4E03
	s_mov_b32 s55, s61                                         // 000000004358: BEB7003D
	s_add_u32 s8, s55, s8                                      // 00000000435C: 80080837
	s_addc_u32 s9, 0, s9                                       // 000000004360: 82090980
	s_mul_i32 s60, s84, s5                                     // 000000004364: 923C0554
	s_mul_hi_u32 s61, s84, s5                                  // 000000004368: 963D0554
	s_and_b32 s61, s61, 0xffff                                 // 00000000436C: 863DFF3D 0000FFFF
	s_add_u32 s8, s8, s60                                      // 000000004374: 80083C08
	s_addc_u32 s9, s9, s61                                     // 000000004378: 82093D09
	s_mul_i32 s61, s3, s81                                     // 00000000437C: 923D5103
	s_mov_b32 s56, s61                                         // 000000004380: BEB8003D
	s_add_u32 s20, s56, s20                                    // 000000004384: 80141438
	s_addc_u32 s21, 0, s21                                     // 000000004388: 82151580
	s_mul_i32 s60, s84, s51                                    // 00000000438C: 923C3354
	s_mul_hi_u32 s61, s84, s51                                 // 000000004390: 963D3354
	s_and_b32 s61, s61, 0xffff                                 // 000000004394: 863DFF3D 0000FFFF
	s_add_u32 s20, s20, s60                                    // 00000000439C: 80143C14
	s_addc_u32 s21, s21, s61                                   // 0000000043A0: 82153D15
	s_mul_i32 s62, 4, s84                                      // 0000000043A4: 923E5484
	s_mul_i32 s61, s3, s49                                     // 0000000043A8: 923D3103
	s_add_u32 s65, s61, s62                                    // 0000000043AC: 80413E3D
	s_mov_b32 s26, s85                                         // 0000000043B0: BE9A0055
	s_mov_b32 s30, s85                                         // 0000000043B4: BE9E0055
	s_add_u32 s24, s65, s24                                    // 0000000043B8: 80181841
	s_addc_u32 s25, 0, s25                                     // 0000000043BC: 82191980
	s_add_u32 s28, s65, s28                                    // 0000000043C0: 801C1C41
	s_addc_u32 s29, 0, s29                                     // 0000000043C4: 821D1D80
	s_mul_i32 s61, s3, s82                                     // 0000000043C8: 923D5203
	s_mul_i32 s62, s86, s52                                    // 0000000043CC: 923E3456
	s_add_u32 s60, s61, s62                                    // 0000000043D0: 803C3E3D
	s_mul_hi_u32 s61, s86, s52                                 // 0000000043D4: 963D3456
	s_and_b32 s61, s61, 0xffff                                 // 0000000043D8: 863DFF3D 0000FFFF
	s_add_u32 s36, s60, s36                                    // 0000000043E0: 8024243C
	s_addc_u32 s37, s61, s37                                   // 0000000043E4: 8225253D
	s_mul_i32 s60, s87, s52                                    // 0000000043E8: 923C3457
	s_lshr_b32 s60, s60, 2                                     // 0000000043EC: 8F3C823C
	s_mov_b32 s38, s60                                         // 0000000043F0: BEA6003C
	s_mul_i32 s61, s3, s83                                     // 0000000043F4: 923D5303
	s_mul_i32 s62, s86, s53                                    // 0000000043F8: 923E3556
	s_add_u32 s60, s61, s62                                    // 0000000043FC: 803C3E3D
	s_mul_hi_u32 s61, s86, s53                                 // 000000004400: 963D3556
	s_and_b32 s61, s61, 0xffff                                 // 000000004404: 863DFF3D 0000FFFF
	s_add_u32 s40, s60, s40                                    // 00000000440C: 8028283C
	s_addc_u32 s41, s61, s41                                   // 000000004410: 8229293D
	s_mul_i32 s60, s87, s53                                    // 000000004414: 923C3557
	s_lshr_b32 s60, s60, 2                                     // 000000004418: 8F3C823C
	s_mov_b32 s42, s60                                         // 00000000441C: BEAA003C
	s_mul_i32 s60, 64, s65                                     // 000000004420: 923C41C0
	s_mul_hi_u32 s61, 64, s65                                  // 000000004424: 963D41C0
	s_and_b32 s61, s61, 0xffff                                 // 000000004428: 863DFF3D 0000FFFF
	s_add_u32 s32, s60, s32                                    // 000000004430: 8020203C
	s_addc_u32 s33, s61, s33                                   // 000000004434: 8221213D
	s_mul_i32 s60, 64, s85                                     // 000000004438: 923C55C0
	s_mov_b32 s34, s60                                         // 00000000443C: BEA2003C
	s_mov_b32 s90, s8                                          // 000000004440: BEDA0008
	s_mov_b32 s94, s12                                         // 000000004444: BEDE000C
	s_mov_b32 s96, s16                                         // 000000004448: BEE00010
	s_mov_b32 s98, s20                                         // 00000000444C: BEE20014
	s_mov_b32 s91, s9                                          // 000000004450: BEDB0009
	s_mov_b32 s95, s13                                         // 000000004454: BEDF000D
	s_mov_b32 s97, s17                                         // 000000004458: BEE10011
	s_mov_b32 s99, s21                                         // 00000000445C: BEE30015
	s_add_u32 s71, 0xbf, s87                                   // 000000004460: 804757FF 000000BF
	s_mov_b32 s74, 0xc0                                        // 000000004468: BECA00FF 000000C0
	v_cvt_f32_u32_e32 v32, s74                                 // 000000004470: 7E400C4A
	s_sub_i32 s60, 0, s74                                      // 000000004474: 81BC4A80
	v_rcp_iflag_f32_e32 v32, v32                               // 000000004478: 7E404720
	s_nop 0                                                    // 00000000447C: BF800000
	v_mul_f32_e32 v32, 0x4f7ffffe, v32                         // 000000004480: 0A4040FF 4F7FFFFE
	v_cvt_u32_f32_e32 v32, v32                                 // 000000004488: 7E400F20
	v_mul_lo_u32 v33, s60, v32                                 // 00000000448C: D2850021 0002403C
	v_mul_hi_u32 v33, v32, v33                                 // 000000004494: D2860021 00024320
	v_add_u32_e32 v32, v32, v33                                // 00000000449C: 68404320
	v_mul_hi_u32 v32, s71, v32                                 // 0000000044A0: D2860020 00024047
	v_mul_lo_u32 v33, v32, s74                                 // 0000000044A8: D2850021 00009520
	v_sub_u32_e32 v35, s71, v33                                // 0000000044B0: 6A464247
	v_add_u32_e32 v34, 1, v32                                  // 0000000044B4: 68444081
	v_cmp_le_u32_e32 vcc, s74, v35                             // 0000000044B8: 7D96464A
	v_subrev_u32_e32 v33, s74, v35                             // 0000000044BC: 6C42464A
	s_nop 0                                                    // 0000000044C0: BF800000
	v_cndmask_b32_e32 v32, v32, v34, vcc                       // 0000000044C4: 00404520
	v_cndmask_b32_e32 v35, v35, v33, vcc                       // 0000000044C8: 00464323
	v_add_u32_e32 v33, 1, v32                                  // 0000000044CC: 68424081
	v_cmp_le_u32_e32 vcc, s74, v35                             // 0000000044D0: 7D96464A
	s_nop 1                                                    // 0000000044D4: BF800001
	v_cndmask_b32_e32 v35, v32, v33, vcc                       // 0000000044D8: 00464320
	s_nop 3                                                    // 0000000044DC: BF800003
	v_readfirstlane_b32 s77, v35                               // 0000000044E0: 7E9A0523
	s_nop 3                                                    // 0000000044E4: BF800003
	v_mov_b32_e32 v32, s47                                     // 0000000044E8: 7E40022F
	v_mul_f32_e32 v32, s48, v32                                // 0000000044EC: 0A404030
	v_mov_b32_e32 v229, 0xffff0000                             // 0000000044F0: 7FCA02FF FFFF0000
	v_mov_b32_e32 v230, 0x7fff0000                             // 0000000044F8: 7FCC02FF 7FFF0000
	v_mov_b32_e32 v231, 0x7fff                                 // 000000004500: 7FCE02FF 00007FFF
	s_mov_b32 s63, 0x5040100                                   // 000000004508: BEBF00FF 05040100
	s_mov_b32 s64, 0x7060302                                   // 000000004510: BEC000FF 07060302
	v_readfirstlane_b32 s57, v32                               // 000000004518: 7E720520
	v_mov_b32_e32 v34, 0x3020706                               // 00000000451C: 7E4402FF 03020706
	v_mov_b32_e32 v32, s63                                     // 000000004524: 7E40023F
	v_and_b32_e32 v33, 1, v0                                   // 000000004528: 26420081
	v_cmp_eq_u32_e32 vcc, 1, v33                               // 00000000452C: 7D944281
	s_mov_b32 s67, 0x800                                       // 000000004530: BEC300FF 00000800
	v_cndmask_b32_e32 v17, v32, v34, vcc                       // 000000004538: 00224520
	s_cmp_lt_u32 s46, 2                                        // 00000000453C: BF0A822E
	s_cselect_b32 s24, s24, s28                                // 000000004540: 85181C18
	s_cselect_b32 s25, s25, s29                                // 000000004544: 85191D19
	s_cselect_b32 s26, s26, s30                                // 000000004548: 851A1E1A
	s_cselect_b32 s27, s27, s31                                // 00000000454C: 851B1F1B
	s_lshr_b32 s60, s46, 1                                     // 000000004550: 8F3C812E
	s_lshl_b32 s60, s60, 8                                     // 000000004554: 8E3C883C
	s_add_u32 s80, 0x9a00, s60                                 // 000000004558: 80503CFF 00009A00
	s_add_u32 s81, 0x200, s80                                  // 000000004560: 805150FF 00000200
	s_mov_b32 m0, s80                                          // 000000004568: BEFC0050
	s_mov_b32 s75, 0                                           // 00000000456C: BECB0080
	s_mov_b32 s76, 1                                           // 000000004570: BECC0081
	s_lshl_b32 s60, s2, 1                                      // 000000004574: 8E3C8102
	s_add_u32 s60, 1, s60                                      // 000000004578: 803C3C81
	s_cmp_ge_i32 s60, s77                                      // 00000000457C: BF034D3C
	s_cselect_b32 s76, s76, 2                                  // 000000004580: 854C824C

0000000000004584 <label_0161>:
	s_mov_b32 m0, s80                                          // 000000004584: BEFC0050
	s_mov_b32 s66, 0                                           // 000000004588: BEC20080
	v_mov_b32_e32 v178, 0xff800000                             // 00000000458C: 7F6402FF FF800000
	s_mov_b32 s74, 0                                           // 000000004594: BECA0080
	s_mul_i32 s68, 8, s5                                       // 000000004598: 92440588
	s_mul_i32 s100, 8, s51                                     // 00000000459C: 92643388
	s_mov_b32 s69, 32                                          // 0000000045A0: BEC500A0
	s_mul_i32 s59, 0xc0, s2                                    // 0000000045A4: 923B02FF 000000C0
	s_mul_i32 s54, s6, s59                                     // 0000000045AC: 92363B06
	s_sub_i32 s61, s87, s59                                    // 0000000045B0: 81BD3B57
	s_mul_i32 s62, s6, s61                                     // 0000000045B4: 923E3D06
	s_lshr_b32 s62, s62, 2                                     // 0000000045B8: 8F3E823E
	s_mov_b32 s14, s62                                         // 0000000045BC: BE8E003E
	s_add_u32 s12, s54, s94                                    // 0000000045C0: 800C5E36
	s_addc_u32 s13, 0, s95                                     // 0000000045C4: 820D5F80
	s_mul_i32 s54, s7, s59                                     // 0000000045C8: 92363B07
	s_mul_i32 s62, s7, s61                                     // 0000000045CC: 923E3D07
	s_lshr_b32 s62, s62, 2                                     // 0000000045D0: 8F3E823E
	s_mov_b32 s18, s62                                         // 0000000045D4: BE92003E
	s_add_u32 s16, s54, s96                                    // 0000000045D8: 80106036
	s_addc_u32 s17, 0, s97                                     // 0000000045DC: 82116180
	s_mov_b32 s71, s6                                          // 0000000045E0: BEC70006
	v_lshrrev_b32_e32 v32, 4, v0                               // 0000000045E4: 20400084
	v_and_b32_e32 v33, 1, v32                                  // 0000000045E8: 26424081
	v_lshlrev_b32_e32 v33, 1, v33                              // 0000000045EC: 24424281
	v_mul_i32_i24_e32 v33, s71, v33                            // 0000000045F0: 0C424247
	v_and_b32_e32 v34, 2, v32                                  // 0000000045F4: 26444082
	v_lshlrev_b32_e32 v34, 5, v34                              // 0000000045F8: 24444485
	v_add_u32_e32 v33, v34, v33                                // 0000000045FC: 68424322
	v_and_b32_e32 v32, 15, v0                                  // 000000004600: 2640008F
	v_lshlrev_b32_e32 v32, 2, v32                              // 000000004604: 24404082
	v_add_u32_e32 v1, v32, v33                                 // 000000004608: 68024320
	s_mul_i32 s60, s46, s71                                    // 00000000460C: 923C472E
	s_mul_i32 s60, s60, 4                                      // 000000004610: 923C843C
	v_add_u32_e32 v1, s60, v1                                  // 000000004614: 6802023C
	v_add_u32_e32 v2, s71, v1                                  // 000000004618: 68040247
	s_mul_i32 s60, 16, s71                                     // 00000000461C: 923C4790
	v_add_u32_e32 v3, s60, v1                                  // 000000004620: 6806023C
	v_add_u32_e32 v4, s60, v2                                  // 000000004624: 6808043C
	s_mov_b32 s71, s7                                          // 000000004628: BEC70007
	v_lshrrev_b32_e32 v32, 4, v0                               // 00000000462C: 20400084
	v_and_b32_e32 v33, 1, v32                                  // 000000004630: 26424081
	v_lshlrev_b32_e32 v33, 1, v33                              // 000000004634: 24424281
	v_mul_i32_i24_e32 v33, s71, v33                            // 000000004638: 0C424247
	v_and_b32_e32 v34, 2, v32                                  // 00000000463C: 26444082
	v_lshlrev_b32_e32 v34, 5, v34                              // 000000004640: 24444485
	v_add_u32_e32 v33, v34, v33                                // 000000004644: 68424322
	v_and_b32_e32 v32, 15, v0                                  // 000000004648: 2640008F
	v_lshlrev_b32_e32 v32, 2, v32                              // 00000000464C: 24404082
	v_add_u32_e32 v232, v32, v33                               // 000000004650: 69D04320
	s_mul_i32 s60, s46, s71                                    // 000000004654: 923C472E
	s_mul_i32 s60, s60, 4                                      // 000000004658: 923C843C
	v_add_u32_e32 v232, s60, v232                              // 00000000465C: 69D1D03C
	v_add_u32_e32 v233, s71, v232                              // 000000004660: 69D3D047
	s_mul_i32 s60, 16, s71                                     // 000000004664: 923C4790
	v_add_u32_e32 v234, s60, v232                              // 000000004668: 69D5D03C
	v_add_u32_e32 v235, s60, v233                              // 00000000466C: 69D7D23C
	v_lshrrev_b32_e32 v1, 2, v1                                // 000000004670: 20020282
	v_lshrrev_b32_e32 v2, 2, v2                                // 000000004674: 20040482
	v_lshrrev_b32_e32 v232, 2, v232                            // 000000004678: 21D1D082
	v_lshrrev_b32_e32 v233, 2, v233                            // 00000000467C: 21D3D282
	s_mov_b32 s70, s52                                         // 000000004680: BEC60034
	v_lshrrev_b32_e32 v32, 3, v0                               // 000000004684: 20400083
	v_mul_i32_i24_e32 v5, s70, v32                             // 000000004688: 0C0A4046
	v_lshrrev_b32_e32 v5, 2, v5                                // 00000000468C: 200A0A82
	v_and_b32_e32 v32, 7, v0                                   // 000000004690: 26400087
	v_lshlrev_b32_e32 v33, 2, v32                              // 000000004694: 24424082
	v_add_u32_e32 v5, v33, v5                                  // 000000004698: 680A0B21
	s_mul_i32 s60, 16, s70                                     // 00000000469C: 923C4690
	s_mul_i32 s60, s46, s60                                    // 0000000046A0: 923C3C2E
	v_lshlrev_b32_e32 v5, 2, v5                                // 0000000046A4: 240A0A82
	v_add_u32_e32 v5, s60, v5                                  // 0000000046A8: 680A0A3C
	s_mul_i32 s60, s52, s59                                    // 0000000046AC: 923C3B34
	v_add_u32_e32 v5, s60, v5                                  // 0000000046B0: 680A0A3C
	v_lshrrev_b32_e32 v5, 2, v5                                // 0000000046B4: 200A0A82
	s_mov_b32 s70, s53                                         // 0000000046B8: BEC60035
	v_lshrrev_b32_e32 v32, 3, v0                               // 0000000046BC: 20400083
	v_mul_i32_i24_e32 v10, s70, v32                            // 0000000046C0: 0C144046
	v_lshrrev_b32_e32 v10, 2, v10                              // 0000000046C4: 20141482
	v_and_b32_e32 v32, 7, v0                                   // 0000000046C8: 26400087
	v_lshlrev_b32_e32 v33, 2, v32                              // 0000000046CC: 24424082
	v_add_u32_e32 v10, v33, v10                                // 0000000046D0: 68141521
	s_mul_i32 s60, 16, s70                                     // 0000000046D4: 923C4690
	s_mul_i32 s60, s46, s60                                    // 0000000046D8: 923C3C2E
	v_lshlrev_b32_e32 v10, 2, v10                              // 0000000046DC: 24141482
	v_add_u32_e32 v10, s60, v10                                // 0000000046E0: 6814143C
	s_mul_i32 s60, s53, s59                                    // 0000000046E4: 923C3B35
	v_add_u32_e32 v10, s60, v10                                // 0000000046E8: 6814143C
	v_lshrrev_b32_e32 v10, 2, v10                              // 0000000046EC: 20141482
	s_cmp_ge_i32 s59, s85                                      // 0000000046F0: BF03553B
	s_cselect_b32 s59, s85, s59                                // 0000000046F4: 853B3B55
	s_add_u32 s73, 32, s59                                     // 0000000046F8: 80493BA0
	s_mul_i32 s55, s5, s59                                     // 0000000046FC: 92373B05
	s_sub_i32 s61, s85, s59                                    // 000000004700: 81BD3B55
	s_mul_i32 s62, s5, s61                                     // 000000004704: 923E3D05
	s_lshr_b32 s62, s62, 2                                     // 000000004708: 8F3E823E
	s_mov_b32 s10, s62                                         // 00000000470C: BE8A003E
	s_add_u32 s8, s55, s90                                     // 000000004710: 80085A37
	s_addc_u32 s9, 0, s91                                      // 000000004714: 82095B80
	s_mul_i32 s56, s51, s59                                    // 000000004718: 92383B33
	s_mul_i32 s62, s51, s61                                    // 00000000471C: 923E3D33
	s_lshr_b32 s62, s62, 2                                     // 000000004720: 8F3E823E
	s_mov_b32 s22, s62                                         // 000000004724: BE96003E
	s_add_u32 s20, s56, s98                                    // 000000004728: 80146238
	s_addc_u32 s21, 0, s99                                     // 00000000472C: 82156380
	s_mul_i32 s65, s59, 4                                      // 000000004730: 9241843B
	v_and_b32_e32 v11, 31, v0                                  // 000000004734: 2616009F
	v_lshlrev_b32_e32 v11, 2, v11                              // 000000004738: 24161682
	v_add_u32_e32 v11, s65, v11                                // 00000000473C: 68161641
	v_lshrrev_b32_e32 v11, 2, v11                              // 000000004740: 20161682
	v_lshrrev_b32_e32 v32, 5, v0                               // 000000004744: 20400085
	v_mul_i32_i24_e32 v6, 0x80, v32                            // 000000004748: 0C0C40FF 00000080
	v_and_b32_e32 v32, 31, v0                                  // 000000004750: 2640009F
	v_add_u32_e32 v6, v32, v6                                  // 000000004754: 680C0D20
	s_mul_i32 s60, s46, 0x100                                  // 000000004758: 923CFF2E 00000100
	v_add_u32_e32 v6, s60, v6                                  // 000000004760: 680C0C3C
	v_lshlrev_b32_e32 v6, 2, v6                                // 000000004764: 240C0C82
	v_add_u32_e32 v7, 0x100, v6                                // 000000004768: 680E0CFF 00000100
	v_add_u32_e32 v8, 0x1000, v6                               // 000000004770: 68100CFF 00001000
	v_add_u32_e32 v9, 0x1000, v7                               // 000000004778: 68120EFF 00001000
	s_mul_i32 s60, 64, s65                                     // 000000004780: 923C41C0
	v_add_u32_e32 v6, s60, v6                                  // 000000004784: 680C0C3C
	v_lshrrev_b32_e32 v6, 2, v6                                // 000000004788: 200C0C82
	v_add_u32_e32 v7, s60, v7                                  // 00000000478C: 680E0E3C
	v_lshrrev_b32_e32 v7, 2, v7                                // 000000004790: 200E0E82
	v_add_u32_e32 v8, s60, v8                                  // 000000004794: 6810103C
	v_lshrrev_b32_e32 v8, 2, v8                                // 000000004798: 20101082
	v_add_u32_e32 v9, s60, v9                                  // 00000000479C: 6812123C
	v_lshrrev_b32_e32 v9, 2, v9                                // 0000000047A0: 20121282
	s_mul_i32 s60, 3, s2                                       // 0000000047A4: 923C0283
	s_add_u32 s61, s87, 63                                     // 0000000047A8: 803DBF57
	s_lshr_b32 s61, s61, 6                                     // 0000000047AC: 8F3D863D
	s_sub_i32 s72, s61, s60                                    // 0000000047B0: 81C83C3D
	s_cmp_lt_i32 s72, 3                                        // 0000000047B4: BF048348
	s_cselect_b32 s72, s72, 3                                  // 0000000047B8: 85488348
	s_mul_i32 s60, 0xc0, s2                                    // 0000000047BC: 923C02FF 000000C0
	s_sub_i32 s84, s87, s60                                    // 0000000047C4: 81D43C57
	v_and_b32_e32 v32, 31, v0                                  // 0000000047C8: 2640009F
	v_lshrrev_b32_e32 v32, 1, v32                              // 0000000047CC: 20404081
	v_and_b32_e32 v33, 1, v32                                  // 0000000047D0: 26424081
	v_lshlrev_b32_e32 v33, 4, v33                              // 0000000047D4: 24424284
	v_and_b32_e32 v34, 2, v32                                  // 0000000047D8: 26444082
	v_lshlrev_b32_e32 v34, 2, v34                              // 0000000047DC: 24444482
	v_add_u32_e32 v33, v34, v33                                // 0000000047E0: 68424322
	v_and_b32_e32 v34, 12, v32                                 // 0000000047E4: 2644408C
	v_lshrrev_b32_e32 v34, 1, v34                              // 0000000047E8: 20444481
	v_add_u32_e32 v33, v34, v33                                // 0000000047EC: 68424322
	v_lshrrev_b32_e32 v32, 5, v0                               // 0000000047F0: 20400085
	v_mul_i32_i24_e32 v34, 0x80, v32                           // 0000000047F4: 0C4440FF 00000080
	v_add_u32_e32 v33, v34, v33                                // 0000000047FC: 68424322
	v_and_b32_e32 v34, 1, v0                                   // 000000004800: 26440081
	v_add_u32_e32 v13, v34, v33                                // 000000004804: 681A4322
	s_mul_i32 s60, s46, 32                                     // 000000004808: 923CA02E
	v_add_u32_e32 v13, s60, v13                                // 00000000480C: 681A1A3C
	v_lshlrev_b32_e32 v13, 2, v13                              // 000000004810: 241A1A82
	v_lshrrev_b32_e32 v32, 4, v0                               // 000000004814: 20400084
	v_and_b32_e32 v33, 1, v32                                  // 000000004818: 26424081
	v_lshlrev_b32_e32 v33, 4, v33                              // 00000000481C: 24424284
	v_and_b32_e32 v34, 2, v32                                  // 000000004820: 26444082
	v_mul_i32_i24_e32 v34, 4, v34                              // 000000004824: 0C444484
	v_add_u32_e32 v33, v34, v33                                // 000000004828: 68424322
	v_and_b32_e32 v32, 15, v0                                  // 00000000482C: 2640008F
	v_lshrrev_b32_e32 v34, 2, v32                              // 000000004830: 20444082
	v_lshlrev_b32_e32 v34, 5, v34                              // 000000004834: 24444485
	v_add_u32_e32 v33, v34, v33                                // 000000004838: 68424322
	v_and_b32_e32 v32, 3, v0                                   // 00000000483C: 26400083
	v_and_b32_e32 v34, 1, v32                                  // 000000004840: 26444081
	v_mul_i32_i24_e32 v34, 0x108, v34                          // 000000004844: 0C4444FF 00000108
	v_add_u32_e32 v33, v34, v33                                // 00000000484C: 68424322
	v_and_b32_e32 v34, 2, v32                                  // 000000004850: 26444082
	v_lshlrev_b32_e32 v34, 1, v34                              // 000000004854: 24444481
	v_add_u32_e32 v12, v34, v33                                // 000000004858: 68184322
	v_lshlrev_b32_e32 v12, 2, v12                              // 00000000485C: 24181882
	s_mul_i32 s60, s46, 0x880                                  // 000000004860: 923CFF2E 00000880
	v_add_u32_e32 v24, s60, v12                                // 000000004868: 6830183C
	v_lshrrev_b32_e32 v32, 5, v0                               // 00000000486C: 20400085
	v_mul_i32_i24_e32 v15, 0x80, v32                           // 000000004870: 0C1E40FF 00000080
	v_and_b32_e32 v32, 31, v0                                  // 000000004878: 2640009F
	v_and_b32_e32 v33, 7, v32                                  // 00000000487C: 26424087
	v_and_b32_e32 v34, 1, v33                                  // 000000004880: 26444281
	v_lshlrev_b32_e32 v34, 2, v34                              // 000000004884: 24444482
	v_add_u32_e32 v15, v34, v15                                // 000000004888: 681E1F22
	v_and_b32_e32 v34, 2, v33                                  // 00000000488C: 26444282
	v_lshlrev_b32_e32 v34, 3, v34                              // 000000004890: 24444483
	v_add_u32_e32 v15, v34, v15                                // 000000004894: 681E1F22
	v_and_b32_e32 v34, 4, v33                                  // 000000004898: 26444284
	v_lshlrev_b32_e32 v34, 1, v34                              // 00000000489C: 24444481
	v_add_u32_e32 v15, v34, v15                                // 0000000048A0: 681E1F22
	v_lshrrev_b32_e32 v33, 3, v32                              // 0000000048A4: 20424083
	v_and_b32_e32 v34, 1, v33                                  // 0000000048A8: 26444281
	v_lshlrev_b32_e32 v34, 1, v34                              // 0000000048AC: 24444481
	v_add_u32_e32 v15, v34, v15                                // 0000000048B0: 681E1F22
	v_and_b32_e32 v34, 2, v33                                  // 0000000048B4: 26444282
	v_lshrrev_b32_e32 v34, 1, v34                              // 0000000048B8: 20444481
	v_add_u32_e32 v15, v34, v15                                // 0000000048BC: 681E1F22
	s_mul_i32 s60, s46, 32                                     // 0000000048C0: 923CA02E
	v_add_u32_e32 v15, s60, v15                                // 0000000048C4: 681E1E3C
	v_lshlrev_b32_e32 v15, 2, v15                              // 0000000048C8: 241E1E82
	v_and_b32_e32 v32, 15, v0                                  // 0000000048CC: 2640008F
	v_and_b32_e32 v34, 1, v32                                  // 0000000048D0: 26444081
	v_mul_i32_i24_e32 v14, 0x108, v34                          // 0000000048D4: 0C1C44FF 00000108
	v_and_b32_e32 v34, 2, v32                                  // 0000000048DC: 26444082
	v_lshlrev_b32_e32 v34, 1, v34                              // 0000000048E0: 24444481
	v_add_u32_e32 v14, v34, v14                                // 0000000048E4: 681C1D22
	v_and_b32_e32 v34, 4, v32                                  // 0000000048E8: 26444084
	v_lshlrev_b32_e32 v34, 2, v34                              // 0000000048EC: 24444482
	v_add_u32_e32 v14, v34, v14                                // 0000000048F0: 681C1D22
	v_and_b32_e32 v34, 8, v32                                  // 0000000048F4: 26444088
	v_add_u32_e32 v14, v34, v14                                // 0000000048F8: 681C1D22
	v_lshrrev_b32_e32 v32, 4, v0                               // 0000000048FC: 20400084
	v_and_b32_e32 v34, 1, v32                                  // 000000004900: 26444081
	v_lshlrev_b32_e32 v34, 5, v34                              // 000000004904: 24444485
	v_add_u32_e32 v14, v34, v14                                // 000000004908: 681C1D22
	v_and_b32_e32 v33, 2, v32                                  // 00000000490C: 26424082
	v_mul_i32_i24_e32 v34, 32, v33                             // 000000004910: 0C4442A0
	v_mul_i32_i24_e32 v33, 0x110, v33                          // 000000004914: 0C4242FF 00000110
	v_add_u32_e32 v25, v33, v14                                // 00000000491C: 68321D21
	v_add_u32_e32 v14, v34, v14                                // 000000004920: 681C1D22
	v_lshlrev_b32_e32 v14, 2, v14                              // 000000004924: 241C1C82
	v_lshlrev_b32_e32 v25, 2, v25                              // 000000004928: 24323282
	s_and_b32 s60, 1, s46                                      // 00000000492C: 863C2E81
	s_mul_i32 s60, s60, 0x200                                  // 000000004930: 923CFF3C 00000200
	v_add_u32_e32 v25, s60, v25                                // 000000004938: 6832323C
	v_lshrrev_b32_e32 v32, 4, v0                               // 00000000493C: 20400084
	v_mul_i32_i24_e32 v23, 4, v32                              // 000000004940: 0C2E4084
	v_and_b32_e32 v33, 3, v0                                   // 000000004944: 26420083
	v_add_u32_e32 v23, v33, v23                                // 000000004948: 682E2F21
	v_lshlrev_b32_e32 v23, 2, v23                              // 00000000494C: 242E2E82
	v_lshrrev_b32_e32 v32, 4, v0                               // 000000004950: 20400084
	v_and_b32_e32 v33, 1, v32                                  // 000000004954: 26424081
	v_mul_i32_i24_e32 v21, 0x100, v33                          // 000000004958: 0C2A42FF 00000100
	v_and_b32_e32 v33, 2, v32                                  // 000000004960: 26424082
	v_mul_i32_i24_e32 v33, 64, v33                             // 000000004964: 0C4242C0
	v_add_u32_e32 v21, v33, v21                                // 000000004968: 682A2B21
	v_and_b32_e32 v32, 15, v0                                  // 00000000496C: 2640008F
	v_mul_i32_i24_e32 v33, 2, v32                              // 000000004970: 0C424082
	v_add_u32_e32 v21, v33, v21                                // 000000004974: 682A2B21
	s_mul_i32 s60, s46, 32                                     // 000000004978: 923CA02E
	v_add_u32_e32 v21, s60, v21                                // 00000000497C: 682A2A3C
	v_lshlrev_b32_e32 v21, 2, v21                              // 000000004980: 242A2A82
	v_lshlrev_b32_e32 v22, 1, v0                               // 000000004984: 242C0081
	s_mul_i32 s60, s46, 0x200                                  // 000000004988: 923CFF2E 00000200
	v_add_u32_e32 v22, s60, v22                                // 000000004990: 682C2C3C
	v_lshlrev_b32_e32 v22, 2, v22                              // 000000004994: 242C2C82
	v_lshrrev_b32_e32 v32, 5, v0                               // 000000004998: 20400085
	v_mul_i32_i24_e32 v19, 64, v32                             // 00000000499C: 0C2640C0
	v_and_b32_e32 v32, 31, v0                                  // 0000000049A0: 2640009F
	v_and_b32_e32 v32, 3, v32                                  // 0000000049A4: 26404083
	v_and_b32_e32 v33, 1, v32                                  // 0000000049A8: 26424081
	v_mul_i32_i24_e32 v33, 4, v33                              // 0000000049AC: 0C424284
	v_add_u32_e32 v19, v33, v19                                // 0000000049B0: 68262721
	v_and_b32_e32 v33, 2, v32                                  // 0000000049B4: 26424082
	v_mul_i32_i24_e32 v33, 0x44, v33                           // 0000000049B8: 0C4242FF 00000044
	v_add_u32_e32 v19, v33, v19                                // 0000000049C0: 68262721
	v_and_b32_e32 v32, 31, v0                                  // 0000000049C4: 2640009F
	v_lshrrev_b32_e32 v32, 2, v32                              // 0000000049C8: 20404082
	v_lshrrev_b32_e32 v34, 2, v32                              // 0000000049CC: 20444082
	v_mul_i32_i24_e32 v33, 16, v34                             // 0000000049D0: 0C424490
	v_add_u32_e32 v19, v33, v19                                // 0000000049D4: 68262721
	v_and_b32_e32 v33, 2, v32                                  // 0000000049D8: 26424082
	v_lshlrev_b32_e32 v33, 4, v33                              // 0000000049DC: 24424284
	v_add_u32_e32 v19, v33, v19                                // 0000000049E0: 68262721
	v_and_b32_e32 v33, 1, v32                                  // 0000000049E4: 26424081
	v_xor_b32_e32 v33, v34, v33                                // 0000000049E8: 2A424322
	v_mul_i32_i24_e32 v33, 8, v33                              // 0000000049EC: 0C424288
	v_add_u32_e32 v19, v33, v19                                // 0000000049F0: 68262721
	s_lshr_b32 s60, s46, 1                                     // 0000000049F4: 8F3C812E
	s_mul_i32 s60, s60, 0x6c0                                  // 0000000049F8: 923CFF3C 000006C0
	v_add_u32_e32 v19, s60, v19                                // 000000004A00: 6826263C
	v_lshlrev_b32_e32 v19, 2, v19                              // 000000004A04: 24262682
	v_lshrrev_b32_e32 v32, 5, v0                               // 000000004A08: 20400085
	v_mul_i32_i24_e32 v20, 32, v32                             // 000000004A0C: 0C2840A0
	v_and_b32_e32 v32, 31, v0                                  // 000000004A10: 2640009F
	v_and_b32_e32 v32, 3, v32                                  // 000000004A14: 26404083
	v_and_b32_e32 v33, 1, v32                                  // 000000004A18: 26424081
	v_mul_i32_i24_e32 v33, 4, v33                              // 000000004A1C: 0C424284
	v_add_u32_e32 v20, v33, v20                                // 000000004A20: 68282921
	v_and_b32_e32 v33, 2, v32                                  // 000000004A24: 26424082
	v_lshrrev_b32_e32 v33, 1, v33                              // 000000004A28: 20424281
	v_add_u32_e32 v20, v33, v20                                // 000000004A2C: 68282921
	v_and_b32_e32 v32, 31, v0                                  // 000000004A30: 2640009F
	v_lshrrev_b32_e32 v32, 2, v32                              // 000000004A34: 20404082
	v_and_b32_e32 v34, 1, v32                                  // 000000004A38: 26444081
	v_mul_i32_i24_e32 v33, 16, v34                             // 000000004A3C: 0C424490
	v_add_u32_e32 v20, v33, v20                                // 000000004A40: 68282921
	v_and_b32_e32 v33, 2, v32                                  // 000000004A44: 26424082
	v_add_u32_e32 v20, v33, v20                                // 000000004A48: 68282921
	v_lshrrev_b32_e32 v33, 2, v32                              // 000000004A4C: 20424082
	v_xor_b32_e32 v33, v34, v33                                // 000000004A50: 2A424322
	v_mul_i32_i24_e32 v33, 8, v33                              // 000000004A54: 0C424288
	v_add_u32_e32 v20, v33, v20                                // 000000004A58: 68282921
	s_and_b32 s60, 1, s46                                      // 000000004A5C: 863C2E81
	s_mul_i32 s60, s60, 64                                     // 000000004A60: 923CC03C
	s_lshr_b32 s61, s46, 1                                     // 000000004A64: 8F3D812E
	s_mul_i32 s61, s61, 0x120                                  // 000000004A68: 923DFF3D 00000120
	s_add_u32 s60, s60, s61                                    // 000000004A70: 803C3D3C
	v_add_u32_e32 v20, s60, v20                                // 000000004A74: 6828283C
	v_lshlrev_b32_e32 v20, 2, v20                              // 000000004A78: 24282882
	buffer_load_dword v180, v1, s[12:15], 0 idxen              // 000000004A7C: E0502000 8003B401
	buffer_load_dword v181, v2, s[12:15], 0 idxen              // 000000004A84: E0502000 8003B502
	s_mul_i32 s60, 4, s6                                       // 000000004A8C: 923C0684
	s_cmp_lt_i32 0, s72                                        // 000000004A90: BF044880
	s_cselect_b32 s60, s60, 0                                  // 000000004A94: 853C803C
	v_add_u32_e32 v1, s60, v1                                  // 000000004A98: 6802023C
	v_add_u32_e32 v2, s60, v2                                  // 000000004A9C: 6804043C
	buffer_load_dword v182, v1, s[12:15], 0 idxen              // 000000004AA0: E0502000 8003B601
	buffer_load_dword v183, v2, s[12:15], 0 idxen              // 000000004AA8: E0502000 8003B702
	s_mul_i32 s60, 4, s6                                       // 000000004AB0: 923C0684
	s_cmp_lt_i32 0, s72                                        // 000000004AB4: BF044880
	s_cselect_b32 s60, s60, 0                                  // 000000004AB8: 853C803C
	v_add_u32_e32 v1, s60, v1                                  // 000000004ABC: 6802023C
	v_add_u32_e32 v2, s60, v2                                  // 000000004AC0: 6804043C
	buffer_load_dword v184, v1, s[12:15], 0 idxen              // 000000004AC4: E0502000 8003B801
	buffer_load_dword v185, v2, s[12:15], 0 idxen              // 000000004ACC: E0502000 8003B902
	s_mul_i32 s60, 4, s6                                       // 000000004AD4: 923C0684
	s_cmp_lt_i32 0, s72                                        // 000000004AD8: BF044880
	s_cselect_b32 s60, s60, 0                                  // 000000004ADC: 853C803C
	v_add_u32_e32 v1, s60, v1                                  // 000000004AE0: 6802023C
	v_add_u32_e32 v2, s60, v2                                  // 000000004AE4: 6804043C
	buffer_load_dword v186, v1, s[12:15], 0 idxen              // 000000004AE8: E0502000 8003BA01
	buffer_load_dword v187, v2, s[12:15], 0 idxen              // 000000004AF0: E0502000 8003BB02
	s_mul_i32 s60, 4, s6                                       // 000000004AF8: 923C0684
	s_cmp_lt_i32 1, s72                                        // 000000004AFC: BF044881
	s_cselect_b32 s60, s60, 0                                  // 000000004B00: 853C803C
	v_add_u32_e32 v1, s60, v1                                  // 000000004B04: 6802023C
	v_add_u32_e32 v2, s60, v2                                  // 000000004B08: 6804043C
	buffer_load_dword v188, v1, s[12:15], 0 idxen              // 000000004B0C: E0502000 8003BC01
	buffer_load_dword v189, v2, s[12:15], 0 idxen              // 000000004B14: E0502000 8003BD02
	s_mul_i32 s60, 4, s6                                       // 000000004B1C: 923C0684
	s_cmp_lt_i32 1, s72                                        // 000000004B20: BF044881
	s_cselect_b32 s60, s60, 0                                  // 000000004B24: 853C803C
	v_add_u32_e32 v1, s60, v1                                  // 000000004B28: 6802023C
	v_add_u32_e32 v2, s60, v2                                  // 000000004B2C: 6804043C
	buffer_load_dword v190, v1, s[12:15], 0 idxen              // 000000004B30: E0502000 8003BE01
	buffer_load_dword v191, v2, s[12:15], 0 idxen              // 000000004B38: E0502000 8003BF02
	s_mul_i32 s60, 4, s6                                       // 000000004B40: 923C0684
	s_cmp_lt_i32 1, s72                                        // 000000004B44: BF044881
	s_cselect_b32 s60, s60, 0                                  // 000000004B48: 853C803C
	v_add_u32_e32 v1, s60, v1                                  // 000000004B4C: 6802023C
	v_add_u32_e32 v2, s60, v2                                  // 000000004B50: 6804043C
	buffer_load_dword v192, v1, s[12:15], 0 idxen              // 000000004B54: E0502000 8003C001
	buffer_load_dword v193, v2, s[12:15], 0 idxen              // 000000004B5C: E0502000 8003C102
	s_mul_i32 s60, 4, s6                                       // 000000004B64: 923C0684
	s_cmp_lt_i32 1, s72                                        // 000000004B68: BF044881
	s_cselect_b32 s60, s60, 0                                  // 000000004B6C: 853C803C
	v_add_u32_e32 v1, s60, v1                                  // 000000004B70: 6802023C
	v_add_u32_e32 v2, s60, v2                                  // 000000004B74: 6804043C
	buffer_load_dword v194, v1, s[12:15], 0 idxen              // 000000004B78: E0502000 8003C201
	buffer_load_dword v195, v2, s[12:15], 0 idxen              // 000000004B80: E0502000 8003C302
	s_mul_i32 s60, 4, s6                                       // 000000004B88: 923C0684
	s_cmp_lt_i32 2, s72                                        // 000000004B8C: BF044882
	s_cselect_b32 s60, s60, 0                                  // 000000004B90: 853C803C
	v_add_u32_e32 v1, s60, v1                                  // 000000004B94: 6802023C
	v_add_u32_e32 v2, s60, v2                                  // 000000004B98: 6804043C
	buffer_load_dword v196, v1, s[12:15], 0 idxen              // 000000004B9C: E0502000 8003C401
	buffer_load_dword v197, v2, s[12:15], 0 idxen              // 000000004BA4: E0502000 8003C502
	s_mul_i32 s60, 4, s6                                       // 000000004BAC: 923C0684
	s_cmp_lt_i32 2, s72                                        // 000000004BB0: BF044882
	s_cselect_b32 s60, s60, 0                                  // 000000004BB4: 853C803C
	v_add_u32_e32 v1, s60, v1                                  // 000000004BB8: 6802023C
	v_add_u32_e32 v2, s60, v2                                  // 000000004BBC: 6804043C
	buffer_load_dword v198, v1, s[12:15], 0 idxen              // 000000004BC0: E0502000 8003C601
	buffer_load_dword v199, v2, s[12:15], 0 idxen              // 000000004BC8: E0502000 8003C702
	s_mul_i32 s60, 4, s6                                       // 000000004BD0: 923C0684
	s_cmp_lt_i32 2, s72                                        // 000000004BD4: BF044882
	s_cselect_b32 s60, s60, 0                                  // 000000004BD8: 853C803C
	v_add_u32_e32 v1, s60, v1                                  // 000000004BDC: 6802023C
	v_add_u32_e32 v2, s60, v2                                  // 000000004BE0: 6804043C
	buffer_load_dword v200, v1, s[12:15], 0 idxen              // 000000004BE4: E0502000 8003C801
	buffer_load_dword v201, v2, s[12:15], 0 idxen              // 000000004BEC: E0502000 8003C902
	s_mul_i32 s60, 4, s6                                       // 000000004BF4: 923C0684
	s_cmp_lt_i32 2, s72                                        // 000000004BF8: BF044882
	s_cselect_b32 s60, s60, 0                                  // 000000004BFC: 853C803C
	v_add_u32_e32 v1, s60, v1                                  // 000000004C00: 6802023C
	v_add_u32_e32 v2, s60, v2                                  // 000000004C04: 6804043C
	buffer_load_dword v202, v1, s[12:15], 0 idxen              // 000000004C08: E0502000 8003CA01
	buffer_load_dword v203, v2, s[12:15], 0 idxen              // 000000004C10: E0502000 8003CB02
	s_mul_i32 s60, 4, s6                                       // 000000004C18: 923C0684
	s_cmp_lt_i32 3, s72                                        // 000000004C1C: BF044883
	s_cselect_b32 s60, s60, 0                                  // 000000004C20: 853C803C
	v_add_u32_e32 v1, s60, v1                                  // 000000004C24: 6802023C
	v_add_u32_e32 v2, s60, v2                                  // 000000004C28: 6804043C
	s_waitcnt vmcnt(16) lgkmcnt(0)                             // 000000004C2C: BF8C4070
	s_barrier                                                  // 000000004C30: BF8A0000
	s_cmp_lt_i32 0, s72                                        // 000000004C34: BF044880
	s_cbranch_scc1 label_0317                                  // 000000004C38: BF850008
	v_mov_b32_e32 v180, 0                                      // 000000004C3C: 7F680280
	v_mov_b32_e32 v181, 0                                      // 000000004C40: 7F6A0280
	v_mov_b32_e32 v182, 0                                      // 000000004C44: 7F6C0280
	v_mov_b32_e32 v183, 0                                      // 000000004C48: 7F6E0280
	v_mov_b32_e32 v184, 0                                      // 000000004C4C: 7F700280
	v_mov_b32_e32 v185, 0                                      // 000000004C50: 7F720280
	v_mov_b32_e32 v186, 0                                      // 000000004C54: 7F740280
	v_mov_b32_e32 v187, 0                                      // 000000004C58: 7F760280

0000000000004c5c <label_0317>:
	v_perm_b32 v204, v181, v180, s63                           // 000000004C5C: D1ED00CC 00FF69B5
	v_perm_b32 v205, v181, v180, s64                           // 000000004C64: D1ED00CD 010369B5
	v_perm_b32 v206, v183, v182, s63                           // 000000004C6C: D1ED00CE 00FF6DB7
	v_perm_b32 v207, v183, v182, s64                           // 000000004C74: D1ED00CF 01036DB7
	v_perm_b32 v208, v185, v184, s63                           // 000000004C7C: D1ED00D0 00FF71B9
	v_perm_b32 v209, v185, v184, s64                           // 000000004C84: D1ED00D1 010371B9
	v_perm_b32 v210, v187, v186, s63                           // 000000004C8C: D1ED00D2 00FF75BB
	v_perm_b32 v211, v187, v186, s64                           // 000000004C94: D1ED00D3 010375BB
	ds_write_b32 v15, v204 offset:8704                         // 000000004C9C: D81A2200 0000CC0F
	ds_write_b32 v15, v205 offset:9760                         // 000000004CA4: D81A2620 0000CD0F
	ds_write_b32 v15, v206 offset:10880                        // 000000004CAC: D81A2A80 0000CE0F
	ds_write_b32 v15, v207 offset:11936                        // 000000004CB4: D81A2EA0 0000CF0F
	ds_write_b32 v15, v208 offset:13056                        // 000000004CBC: D81A3300 0000D00F
	ds_write_b32 v15, v209 offset:14112                        // 000000004CC4: D81A3720 0000D10F
	ds_write_b32 v15, v210 offset:15232                        // 000000004CCC: D81A3B80 0000D20F
	ds_write_b32 v15, v211 offset:16288                        // 000000004CD4: D81A3FA0 0000D30F
	ds_write_b32 v13, v180                                     // 000000004CDC: D81A0000 0000B40D
	ds_write_b32 v13, v181 offset:1056                         // 000000004CE4: D81A0420 0000B50D
	ds_write_b32 v13, v182 offset:2176                         // 000000004CEC: D81A0880 0000B60D
	ds_write_b32 v13, v183 offset:3232                         // 000000004CF4: D81A0CA0 0000B70D
	ds_write_b32 v13, v184 offset:4352                         // 000000004CFC: D81A1100 0000B80D
	ds_write_b32 v13, v185 offset:5408                         // 000000004D04: D81A1520 0000B90D
	ds_write_b32 v13, v186 offset:6528                         // 000000004D0C: D81A1980 0000BA0D
	ds_write_b32 v13, v187 offset:7584                         // 000000004D14: D81A1DA0 0000BB0D
	buffer_load_dword v180, v232, s[16:19], 0 idxen            // 000000004D1C: E0502000 8004B4E8
	buffer_load_dword v181, v233, s[16:19], 0 idxen            // 000000004D24: E0502000 8004B5E9
	s_mul_i32 s60, 4, s7                                       // 000000004D2C: 923C0784
	s_cmp_lt_i32 0, s72                                        // 000000004D30: BF044880
	s_cselect_b32 s60, s60, 0                                  // 000000004D34: 853C803C
	v_add_u32_e32 v232, s60, v232                              // 000000004D38: 69D1D03C
	v_add_u32_e32 v233, s60, v233                              // 000000004D3C: 69D3D23C
	buffer_load_dword v182, v232, s[16:19], 0 idxen            // 000000004D40: E0502000 8004B6E8
	buffer_load_dword v183, v233, s[16:19], 0 idxen            // 000000004D48: E0502000 8004B7E9
	s_mul_i32 s60, 4, s7                                       // 000000004D50: 923C0784
	s_cmp_lt_i32 0, s72                                        // 000000004D54: BF044880
	s_cselect_b32 s60, s60, 0                                  // 000000004D58: 853C803C
	v_add_u32_e32 v232, s60, v232                              // 000000004D5C: 69D1D03C
	v_add_u32_e32 v233, s60, v233                              // 000000004D60: 69D3D23C
	buffer_load_dword v184, v232, s[16:19], 0 idxen            // 000000004D64: E0502000 8004B8E8
	buffer_load_dword v185, v233, s[16:19], 0 idxen            // 000000004D6C: E0502000 8004B9E9
	s_mul_i32 s60, 4, s7                                       // 000000004D74: 923C0784
	s_cmp_lt_i32 0, s72                                        // 000000004D78: BF044880
	s_cselect_b32 s60, s60, 0                                  // 000000004D7C: 853C803C
	v_add_u32_e32 v232, s60, v232                              // 000000004D80: 69D1D03C
	v_add_u32_e32 v233, s60, v233                              // 000000004D84: 69D3D23C
	buffer_load_dword v186, v232, s[16:19], 0 idxen            // 000000004D88: E0502000 8004BAE8
	buffer_load_dword v187, v233, s[16:19], 0 idxen            // 000000004D90: E0502000 8004BBE9
	s_mul_i32 s60, 4, s7                                       // 000000004D98: 923C0784
	s_cmp_lt_i32 1, s72                                        // 000000004D9C: BF044881
	s_cselect_b32 s60, s60, 0                                  // 000000004DA0: 853C803C
	v_add_u32_e32 v232, s60, v232                              // 000000004DA4: 69D1D03C
	v_add_u32_e32 v233, s60, v233                              // 000000004DA8: 69D3D23C
	s_waitcnt lgkmcnt(0)                                       // 000000004DAC: BF8CC07F
	s_barrier                                                  // 000000004DB0: BF8A0000
	ds_read_b128 a[24:27], v25 offset:8704                     // 000000004DB4: DBFE2200 18000019
	ds_read_b128 a[28:31], v25 offset:8960                     // 000000004DBC: DBFE2300 1C000019
	ds_read_b128 a[32:35], v25 offset:13056                    // 000000004DC4: DBFE3300 20000019
	ds_read_b128 a[36:39], v25 offset:13312                    // 000000004DCC: DBFE3400 24000019
	ds_read_b128 a[0:3], v24                                   // 000000004DD4: DBFE0000 00000018
	ds_read_b128 a[4:7], v24 offset:512                        // 000000004DDC: DBFE0200 04000018
	s_waitcnt vmcnt(16) lgkmcnt(0)                             // 000000004DE4: BF8C4070
	s_barrier                                                  // 000000004DE8: BF8A0000
	s_cmp_lt_i32 1, s72                                        // 000000004DEC: BF044881
	s_cbranch_scc1 label_0385                                  // 000000004DF0: BF850008
	v_mov_b32_e32 v188, 0                                      // 000000004DF4: 7F780280
	v_mov_b32_e32 v189, 0                                      // 000000004DF8: 7F7A0280
	v_mov_b32_e32 v190, 0                                      // 000000004DFC: 7F7C0280
	v_mov_b32_e32 v191, 0                                      // 000000004E00: 7F7E0280
	v_mov_b32_e32 v192, 0                                      // 000000004E04: 7F800280
	v_mov_b32_e32 v193, 0                                      // 000000004E08: 7F820280
	v_mov_b32_e32 v194, 0                                      // 000000004E0C: 7F840280
	v_mov_b32_e32 v195, 0                                      // 000000004E10: 7F860280

0000000000004e14 <label_0385>:
	v_perm_b32 v204, v189, v188, s63                           // 000000004E14: D1ED00CC 00FF79BD
	v_perm_b32 v205, v189, v188, s64                           // 000000004E1C: D1ED00CD 010379BD
	v_perm_b32 v206, v191, v190, s63                           // 000000004E24: D1ED00CE 00FF7DBF
	v_perm_b32 v207, v191, v190, s64                           // 000000004E2C: D1ED00CF 01037DBF
	v_perm_b32 v208, v193, v192, s63                           // 000000004E34: D1ED00D0 00FF81C1
	v_perm_b32 v209, v193, v192, s64                           // 000000004E3C: D1ED00D1 010381C1
	v_perm_b32 v210, v195, v194, s63                           // 000000004E44: D1ED00D2 00FF85C3
	v_perm_b32 v211, v195, v194, s64                           // 000000004E4C: D1ED00D3 010385C3
	ds_write_b32 v15, v204 offset:8704                         // 000000004E54: D81A2200 0000CC0F
	ds_write_b32 v15, v205 offset:9760                         // 000000004E5C: D81A2620 0000CD0F
	ds_write_b32 v15, v206 offset:10880                        // 000000004E64: D81A2A80 0000CE0F
	ds_write_b32 v15, v207 offset:11936                        // 000000004E6C: D81A2EA0 0000CF0F
	ds_write_b32 v15, v208 offset:13056                        // 000000004E74: D81A3300 0000D00F
	ds_write_b32 v15, v209 offset:14112                        // 000000004E7C: D81A3720 0000D10F
	ds_write_b32 v15, v210 offset:15232                        // 000000004E84: D81A3B80 0000D20F
	ds_write_b32 v15, v211 offset:16288                        // 000000004E8C: D81A3FA0 0000D30F
	ds_write_b32 v13, v188                                     // 000000004E94: D81A0000 0000BC0D
	ds_write_b32 v13, v189 offset:1056                         // 000000004E9C: D81A0420 0000BD0D
	ds_write_b32 v13, v190 offset:2176                         // 000000004EA4: D81A0880 0000BE0D
	ds_write_b32 v13, v191 offset:3232                         // 000000004EAC: D81A0CA0 0000BF0D
	ds_write_b32 v13, v192 offset:4352                         // 000000004EB4: D81A1100 0000C00D
	ds_write_b32 v13, v193 offset:5408                         // 000000004EBC: D81A1520 0000C10D
	ds_write_b32 v13, v194 offset:6528                         // 000000004EC4: D81A1980 0000C20D
	ds_write_b32 v13, v195 offset:7584                         // 000000004ECC: D81A1DA0 0000C30D
	buffer_load_dword v188, v232, s[16:19], 0 idxen            // 000000004ED4: E0502000 8004BCE8
	buffer_load_dword v189, v233, s[16:19], 0 idxen            // 000000004EDC: E0502000 8004BDE9
	s_mul_i32 s60, 4, s7                                       // 000000004EE4: 923C0784
	s_cmp_lt_i32 1, s72                                        // 000000004EE8: BF044881
	s_cselect_b32 s60, s60, 0                                  // 000000004EEC: 853C803C
	v_add_u32_e32 v232, s60, v232                              // 000000004EF0: 69D1D03C
	v_add_u32_e32 v233, s60, v233                              // 000000004EF4: 69D3D23C
	buffer_load_dword v190, v232, s[16:19], 0 idxen            // 000000004EF8: E0502000 8004BEE8
	buffer_load_dword v191, v233, s[16:19], 0 idxen            // 000000004F00: E0502000 8004BFE9
	s_mul_i32 s60, 4, s7                                       // 000000004F08: 923C0784
	s_cmp_lt_i32 1, s72                                        // 000000004F0C: BF044881
	s_cselect_b32 s60, s60, 0                                  // 000000004F10: 853C803C
	v_add_u32_e32 v232, s60, v232                              // 000000004F14: 69D1D03C
	v_add_u32_e32 v233, s60, v233                              // 000000004F18: 69D3D23C
	buffer_load_dword v192, v232, s[16:19], 0 idxen            // 000000004F1C: E0502000 8004C0E8
	buffer_load_dword v193, v233, s[16:19], 0 idxen            // 000000004F24: E0502000 8004C1E9
	s_mul_i32 s60, 4, s7                                       // 000000004F2C: 923C0784
	s_cmp_lt_i32 1, s72                                        // 000000004F30: BF044881
	s_cselect_b32 s60, s60, 0                                  // 000000004F34: 853C803C
	v_add_u32_e32 v232, s60, v232                              // 000000004F38: 69D1D03C
	v_add_u32_e32 v233, s60, v233                              // 000000004F3C: 69D3D23C
	buffer_load_dword v194, v232, s[16:19], 0 idxen            // 000000004F40: E0502000 8004C2E8
	buffer_load_dword v195, v233, s[16:19], 0 idxen            // 000000004F48: E0502000 8004C3E9
	s_mul_i32 s60, 4, s7                                       // 000000004F50: 923C0784
	s_cmp_lt_i32 2, s72                                        // 000000004F54: BF044882
	s_cselect_b32 s60, s60, 0                                  // 000000004F58: 853C803C
	v_add_u32_e32 v232, s60, v232                              // 000000004F5C: 69D1D03C
	v_add_u32_e32 v233, s60, v233                              // 000000004F60: 69D3D23C
	s_waitcnt lgkmcnt(0)                                       // 000000004F64: BF8CC07F
	s_barrier                                                  // 000000004F68: BF8A0000
	ds_read_b128 a[40:43], v25 offset:8704                     // 000000004F6C: DBFE2200 28000019
	ds_read_b128 a[44:47], v25 offset:8960                     // 000000004F74: DBFE2300 2C000019
	ds_read_b128 a[48:51], v25 offset:13056                    // 000000004F7C: DBFE3300 30000019
	ds_read_b128 a[52:55], v25 offset:13312                    // 000000004F84: DBFE3400 34000019
	ds_read_b128 a[8:11], v24                                  // 000000004F8C: DBFE0000 08000018
	ds_read_b128 a[12:15], v24 offset:512                      // 000000004F94: DBFE0200 0C000018
	s_waitcnt vmcnt(16) lgkmcnt(0)                             // 000000004F9C: BF8C4070
	s_barrier                                                  // 000000004FA0: BF8A0000
	s_cmp_lt_i32 2, s72                                        // 000000004FA4: BF044882
	s_cbranch_scc1 label_03F3                                  // 000000004FA8: BF850008
	v_mov_b32_e32 v196, 0                                      // 000000004FAC: 7F880280
	v_mov_b32_e32 v197, 0                                      // 000000004FB0: 7F8A0280
	v_mov_b32_e32 v198, 0                                      // 000000004FB4: 7F8C0280
	v_mov_b32_e32 v199, 0                                      // 000000004FB8: 7F8E0280
	v_mov_b32_e32 v200, 0                                      // 000000004FBC: 7F900280
	v_mov_b32_e32 v201, 0                                      // 000000004FC0: 7F920280
	v_mov_b32_e32 v202, 0                                      // 000000004FC4: 7F940280
	v_mov_b32_e32 v203, 0                                      // 000000004FC8: 7F960280

0000000000004fcc <label_03F3>:
	v_perm_b32 v204, v197, v196, s63                           // 000000004FCC: D1ED00CC 00FF89C5
	v_perm_b32 v205, v197, v196, s64                           // 000000004FD4: D1ED00CD 010389C5
	v_perm_b32 v206, v199, v198, s63                           // 000000004FDC: D1ED00CE 00FF8DC7
	v_perm_b32 v207, v199, v198, s64                           // 000000004FE4: D1ED00CF 01038DC7
	v_perm_b32 v208, v201, v200, s63                           // 000000004FEC: D1ED00D0 00FF91C9
	v_perm_b32 v209, v201, v200, s64                           // 000000004FF4: D1ED00D1 010391C9
	v_perm_b32 v210, v203, v202, s63                           // 000000004FFC: D1ED00D2 00FF95CB
	v_perm_b32 v211, v203, v202, s64                           // 000000005004: D1ED00D3 010395CB
	ds_write_b32 v15, v204 offset:8704                         // 00000000500C: D81A2200 0000CC0F
	ds_write_b32 v15, v205 offset:9760                         // 000000005014: D81A2620 0000CD0F
	ds_write_b32 v15, v206 offset:10880                        // 00000000501C: D81A2A80 0000CE0F
	ds_write_b32 v15, v207 offset:11936                        // 000000005024: D81A2EA0 0000CF0F
	ds_write_b32 v15, v208 offset:13056                        // 00000000502C: D81A3300 0000D00F
	ds_write_b32 v15, v209 offset:14112                        // 000000005034: D81A3720 0000D10F
	ds_write_b32 v15, v210 offset:15232                        // 00000000503C: D81A3B80 0000D20F
	ds_write_b32 v15, v211 offset:16288                        // 000000005044: D81A3FA0 0000D30F
	ds_write_b32 v13, v196                                     // 00000000504C: D81A0000 0000C40D
	ds_write_b32 v13, v197 offset:1056                         // 000000005054: D81A0420 0000C50D
	ds_write_b32 v13, v198 offset:2176                         // 00000000505C: D81A0880 0000C60D
	ds_write_b32 v13, v199 offset:3232                         // 000000005064: D81A0CA0 0000C70D
	ds_write_b32 v13, v200 offset:4352                         // 00000000506C: D81A1100 0000C80D
	ds_write_b32 v13, v201 offset:5408                         // 000000005074: D81A1520 0000C90D
	ds_write_b32 v13, v202 offset:6528                         // 00000000507C: D81A1980 0000CA0D
	ds_write_b32 v13, v203 offset:7584                         // 000000005084: D81A1DA0 0000CB0D
	buffer_load_dword v196, v232, s[16:19], 0 idxen            // 00000000508C: E0502000 8004C4E8
	buffer_load_dword v197, v233, s[16:19], 0 idxen            // 000000005094: E0502000 8004C5E9
	s_mul_i32 s60, 4, s7                                       // 00000000509C: 923C0784
	s_cmp_lt_i32 2, s72                                        // 0000000050A0: BF044882
	s_cselect_b32 s60, s60, 0                                  // 0000000050A4: 853C803C
	v_add_u32_e32 v232, s60, v232                              // 0000000050A8: 69D1D03C
	v_add_u32_e32 v233, s60, v233                              // 0000000050AC: 69D3D23C
	buffer_load_dword v198, v232, s[16:19], 0 idxen            // 0000000050B0: E0502000 8004C6E8
	buffer_load_dword v199, v233, s[16:19], 0 idxen            // 0000000050B8: E0502000 8004C7E9
	s_mul_i32 s60, 4, s7                                       // 0000000050C0: 923C0784
	s_cmp_lt_i32 2, s72                                        // 0000000050C4: BF044882
	s_cselect_b32 s60, s60, 0                                  // 0000000050C8: 853C803C
	v_add_u32_e32 v232, s60, v232                              // 0000000050CC: 69D1D03C
	v_add_u32_e32 v233, s60, v233                              // 0000000050D0: 69D3D23C
	buffer_load_dword v200, v232, s[16:19], 0 idxen            // 0000000050D4: E0502000 8004C8E8
	buffer_load_dword v201, v233, s[16:19], 0 idxen            // 0000000050DC: E0502000 8004C9E9
	s_mul_i32 s60, 4, s7                                       // 0000000050E4: 923C0784
	s_cmp_lt_i32 2, s72                                        // 0000000050E8: BF044882
	s_cselect_b32 s60, s60, 0                                  // 0000000050EC: 853C803C
	v_add_u32_e32 v232, s60, v232                              // 0000000050F0: 69D1D03C
	v_add_u32_e32 v233, s60, v233                              // 0000000050F4: 69D3D23C
	buffer_load_dword v202, v232, s[16:19], 0 idxen            // 0000000050F8: E0502000 8004CAE8
	buffer_load_dword v203, v233, s[16:19], 0 idxen            // 000000005100: E0502000 8004CBE9
	s_mul_i32 s60, 4, s7                                       // 000000005108: 923C0784
	s_cmp_lt_i32 3, s72                                        // 00000000510C: BF044883
	s_cselect_b32 s60, s60, 0                                  // 000000005110: 853C803C
	v_add_u32_e32 v232, s60, v232                              // 000000005114: 69D1D03C
	v_add_u32_e32 v233, s60, v233                              // 000000005118: 69D3D23C
	s_waitcnt lgkmcnt(0)                                       // 00000000511C: BF8CC07F
	s_barrier                                                  // 000000005120: BF8A0000
	ds_read_b128 a[56:59], v25 offset:8704                     // 000000005124: DBFE2200 38000019
	ds_read_b128 a[60:63], v25 offset:8960                     // 00000000512C: DBFE2300 3C000019
	ds_read_b128 a[64:67], v25 offset:13056                    // 000000005134: DBFE3300 40000019
	ds_read_b128 a[68:71], v25 offset:13312                    // 00000000513C: DBFE3400 44000019
	ds_read_b128 a[16:19], v24                                 // 000000005144: DBFE0000 10000018
	ds_read_b128 a[20:23], v24 offset:512                      // 00000000514C: DBFE0200 14000018
	s_waitcnt vmcnt(16) lgkmcnt(0)                             // 000000005154: BF8C4070
	s_barrier                                                  // 000000005158: BF8A0000
	s_cmp_lt_i32 0, s72                                        // 00000000515C: BF044880
	s_cbranch_scc1 label_0461                                  // 000000005160: BF850008
	v_mov_b32_e32 v180, 0                                      // 000000005164: 7F680280
	v_mov_b32_e32 v181, 0                                      // 000000005168: 7F6A0280
	v_mov_b32_e32 v182, 0                                      // 00000000516C: 7F6C0280
	v_mov_b32_e32 v183, 0                                      // 000000005170: 7F6E0280
	v_mov_b32_e32 v184, 0                                      // 000000005174: 7F700280
	v_mov_b32_e32 v185, 0                                      // 000000005178: 7F720280
	v_mov_b32_e32 v186, 0                                      // 00000000517C: 7F740280
	v_mov_b32_e32 v187, 0                                      // 000000005180: 7F760280

0000000000005184 <label_0461>:
	ds_write_b32 v13, v180                                     // 000000005184: D81A0000 0000B40D
	ds_write_b32 v13, v181 offset:1056                         // 00000000518C: D81A0420 0000B50D
	ds_write_b32 v13, v182 offset:2176                         // 000000005194: D81A0880 0000B60D
	ds_write_b32 v13, v183 offset:3232                         // 00000000519C: D81A0CA0 0000B70D
	ds_write_b32 v13, v184 offset:4352                         // 0000000051A4: D81A1100 0000B80D
	ds_write_b32 v13, v185 offset:5408                         // 0000000051AC: D81A1520 0000B90D
	ds_write_b32 v13, v186 offset:6528                         // 0000000051B4: D81A1980 0000BA0D
	ds_write_b32 v13, v187 offset:7584                         // 0000000051BC: D81A1DA0 0000BB0D
	s_mov_b32 s71, s5                                          // 0000000051C4: BEC70005
	v_lshrrev_b32_e32 v32, 4, v0                               // 0000000051C8: 20400084
	v_and_b32_e32 v33, 1, v32                                  // 0000000051CC: 26424081
	v_lshlrev_b32_e32 v33, 1, v33                              // 0000000051D0: 24424281
	v_mul_i32_i24_e32 v33, s71, v33                            // 0000000051D4: 0C424247
	v_and_b32_e32 v34, 2, v32                                  // 0000000051D8: 26444082
	v_lshlrev_b32_e32 v34, 5, v34                              // 0000000051DC: 24444485
	v_add_u32_e32 v33, v34, v33                                // 0000000051E0: 68424322
	v_and_b32_e32 v32, 15, v0                                  // 0000000051E4: 2640008F
	v_lshlrev_b32_e32 v32, 2, v32                              // 0000000051E8: 24404082
	v_add_u32_e32 v1, v32, v33                                 // 0000000051EC: 68024320
	s_mul_i32 s60, s46, s71                                    // 0000000051F0: 923C472E
	s_mul_i32 s60, s60, 4                                      // 0000000051F4: 923C843C
	v_add_u32_e32 v1, s60, v1                                  // 0000000051F8: 6802023C
	v_add_u32_e32 v2, s71, v1                                  // 0000000051FC: 68040247
	s_mul_i32 s60, 16, s71                                     // 000000005200: 923C4790
	v_add_u32_e32 v3, s60, v1                                  // 000000005204: 6806023C
	v_add_u32_e32 v4, s60, v2                                  // 000000005208: 6808043C
	s_mov_b32 s71, s51                                         // 00000000520C: BEC70033
	v_lshrrev_b32_e32 v32, 4, v0                               // 000000005210: 20400084
	v_and_b32_e32 v33, 1, v32                                  // 000000005214: 26424081
	v_lshlrev_b32_e32 v33, 1, v33                              // 000000005218: 24424281
	v_mul_i32_i24_e32 v33, s71, v33                            // 00000000521C: 0C424247
	v_and_b32_e32 v34, 2, v32                                  // 000000005220: 26444082
	v_lshlrev_b32_e32 v34, 5, v34                              // 000000005224: 24444485
	v_add_u32_e32 v33, v34, v33                                // 000000005228: 68424322
	v_and_b32_e32 v32, 15, v0                                  // 00000000522C: 2640008F
	v_lshlrev_b32_e32 v32, 2, v32                              // 000000005230: 24404082
	v_add_u32_e32 v232, v32, v33                               // 000000005234: 69D04320
	s_mul_i32 s60, s46, s71                                    // 000000005238: 923C472E
	s_mul_i32 s60, s60, 4                                      // 00000000523C: 923C843C
	v_add_u32_e32 v232, s60, v232                              // 000000005240: 69D1D03C
	v_add_u32_e32 v233, s71, v232                              // 000000005244: 69D3D047
	s_mul_i32 s60, 16, s71                                     // 000000005248: 923C4790
	v_add_u32_e32 v234, s60, v232                              // 00000000524C: 69D5D03C
	v_add_u32_e32 v235, s60, v233                              // 000000005250: 69D7D23C
	v_lshrrev_b32_e32 v1, 2, v1                                // 000000005254: 20020282
	v_lshrrev_b32_e32 v2, 2, v2                                // 000000005258: 20040482
	v_lshrrev_b32_e32 v3, 2, v3                                // 00000000525C: 20060682
	v_lshrrev_b32_e32 v4, 2, v4                                // 000000005260: 20080882
	v_lshrrev_b32_e32 v232, 2, v232                            // 000000005264: 21D1D082
	v_lshrrev_b32_e32 v233, 2, v233                            // 000000005268: 21D3D282
	v_lshrrev_b32_e32 v234, 2, v234                            // 00000000526C: 21D5D482
	v_lshrrev_b32_e32 v235, 2, v235                            // 000000005270: 21D7D682
	buffer_load_dword v36, v1, s[8:11], 0 idxen                // 000000005274: E0502000 80022401
	buffer_load_dword v37, v2, s[8:11], 0 idxen                // 00000000527C: E0502000 80022502
	buffer_load_dword v38, v3, s[8:11], 0 idxen                // 000000005284: E0502000 80022603
	buffer_load_dword v39, v4, s[8:11], 0 idxen                // 00000000528C: E0502000 80022704
	buffer_load_dword v44, v232, s[20:23], 0 idxen             // 000000005294: E0502000 80052CE8
	buffer_load_dword v45, v233, s[20:23], 0 idxen             // 00000000529C: E0502000 80052DE9
	buffer_load_dword v46, v234, s[20:23], 0 idxen             // 0000000052A4: E0502000 80052EEA
	buffer_load_dword v47, v235, s[20:23], 0 idxen             // 0000000052AC: E0502000 80052FEB
	s_waitcnt lgkmcnt(0)                                       // 0000000052B4: BF8CC07F
	s_barrier                                                  // 0000000052B8: BF8A0000
	ds_read_b128 a[72:75], v24                                 // 0000000052BC: DBFE0000 48000018
	ds_read_b128 a[76:79], v24 offset:512                      // 0000000052C4: DBFE0200 4C000018
	v_add_u32_e32 v1, s68, v1                                  // 0000000052CC: 68020244
	v_add_u32_e32 v2, s68, v2                                  // 0000000052D0: 68040444
	v_add_u32_e32 v3, s68, v3                                  // 0000000052D4: 68060644
	v_add_u32_e32 v4, s68, v4                                  // 0000000052D8: 68080844
	v_add_u32_e32 v232, s100, v232                             // 0000000052DC: 69D1D064
	v_add_u32_e32 v233, s100, v233                             // 0000000052E0: 69D3D264
	v_add_u32_e32 v234, s100, v234                             // 0000000052E4: 69D5D464
	v_add_u32_e32 v235, s100, v235                             // 0000000052E8: 69D7D664
	s_waitcnt vmcnt(16) lgkmcnt(0)                             // 0000000052EC: BF8C4070
	s_barrier                                                  // 0000000052F0: BF8A0000
	s_cmp_lt_i32 1, s72                                        // 0000000052F4: BF044881
	s_cbranch_scc1 label_04C7                                  // 0000000052F8: BF850008
	v_mov_b32_e32 v188, 0                                      // 0000000052FC: 7F780280
	v_mov_b32_e32 v189, 0                                      // 000000005300: 7F7A0280
	v_mov_b32_e32 v190, 0                                      // 000000005304: 7F7C0280
	v_mov_b32_e32 v191, 0                                      // 000000005308: 7F7E0280
	v_mov_b32_e32 v192, 0                                      // 00000000530C: 7F800280
	v_mov_b32_e32 v193, 0                                      // 000000005310: 7F820280
	v_mov_b32_e32 v194, 0                                      // 000000005314: 7F840280
	v_mov_b32_e32 v195, 0                                      // 000000005318: 7F860280

000000000000531c <label_04C7>:
	ds_write_b32 v13, v188                                     // 00000000531C: D81A0000 0000BC0D
	ds_write_b32 v13, v189 offset:1056                         // 000000005324: D81A0420 0000BD0D
	ds_write_b32 v13, v190 offset:2176                         // 00000000532C: D81A0880 0000BE0D
	ds_write_b32 v13, v191 offset:3232                         // 000000005334: D81A0CA0 0000BF0D
	ds_write_b32 v13, v192 offset:4352                         // 00000000533C: D81A1100 0000C00D
	ds_write_b32 v13, v193 offset:5408                         // 000000005344: D81A1520 0000C10D
	ds_write_b32 v13, v194 offset:6528                         // 00000000534C: D81A1980 0000C20D
	ds_write_b32 v13, v195 offset:7584                         // 000000005354: D81A1DA0 0000C30D
	buffer_load_dword v40, v1, s[8:11], 0 idxen                // 00000000535C: E0502000 80022801
	buffer_load_dword v41, v2, s[8:11], 0 idxen                // 000000005364: E0502000 80022902
	buffer_load_dword v42, v3, s[8:11], 0 idxen                // 00000000536C: E0502000 80022A03
	buffer_load_dword v43, v4, s[8:11], 0 idxen                // 000000005374: E0502000 80022B04
	buffer_load_dword v48, v232, s[20:23], 0 idxen             // 00000000537C: E0502000 800530E8
	buffer_load_dword v49, v233, s[20:23], 0 idxen             // 000000005384: E0502000 800531E9
	buffer_load_dword v50, v234, s[20:23], 0 idxen             // 00000000538C: E0502000 800532EA
	buffer_load_dword v51, v235, s[20:23], 0 idxen             // 000000005394: E0502000 800533EB
	s_waitcnt lgkmcnt(0)                                       // 00000000539C: BF8CC07F
	s_barrier                                                  // 0000000053A0: BF8A0000
	ds_read_b128 a[80:83], v24                                 // 0000000053A4: DBFE0000 50000018
	ds_read_b128 a[84:87], v24 offset:512                      // 0000000053AC: DBFE0200 54000018
	s_add_u32 s60, 64, s59                                     // 0000000053B4: 803C3BC0
	s_cmp_lt_u32 s60, s58                                      // 0000000053B8: BF0A3A3C
	s_cselect_b32 s68, s68, 0                                  // 0000000053BC: 85448044
	s_cselect_b32 s100, s100, 0                                // 0000000053C0: 85648064
	v_add_u32_e32 v1, s68, v1                                  // 0000000053C4: 68020244
	v_add_u32_e32 v2, s68, v2                                  // 0000000053C8: 68040444
	v_add_u32_e32 v3, s68, v3                                  // 0000000053CC: 68060644
	v_add_u32_e32 v4, s68, v4                                  // 0000000053D0: 68080844
	v_add_u32_e32 v232, s100, v232                             // 0000000053D4: 69D1D064
	v_add_u32_e32 v233, s100, v233                             // 0000000053D8: 69D3D264
	v_add_u32_e32 v234, s100, v234                             // 0000000053DC: 69D5D464
	v_add_u32_e32 v235, s100, v235                             // 0000000053E0: 69D7D664
	s_waitcnt vmcnt(16) lgkmcnt(0)                             // 0000000053E4: BF8C4070
	s_barrier                                                  // 0000000053E8: BF8A0000
	s_cmp_lt_i32 2, s72                                        // 0000000053EC: BF044882
	s_cbranch_scc1 label_0505                                  // 0000000053F0: BF850008
	v_mov_b32_e32 v196, 0                                      // 0000000053F4: 7F880280
	v_mov_b32_e32 v197, 0                                      // 0000000053F8: 7F8A0280
	v_mov_b32_e32 v198, 0                                      // 0000000053FC: 7F8C0280
	v_mov_b32_e32 v199, 0                                      // 000000005400: 7F8E0280
	v_mov_b32_e32 v200, 0                                      // 000000005404: 7F900280
	v_mov_b32_e32 v201, 0                                      // 000000005408: 7F920280
	v_mov_b32_e32 v202, 0                                      // 00000000540C: 7F940280
	v_mov_b32_e32 v203, 0                                      // 000000005410: 7F960280

0000000000005414 <label_0505>:
	ds_write_b32 v13, v196                                     // 000000005414: D81A0000 0000C40D
	ds_write_b32 v13, v197 offset:1056                         // 00000000541C: D81A0420 0000C50D
	ds_write_b32 v13, v198 offset:2176                         // 000000005424: D81A0880 0000C60D
	ds_write_b32 v13, v199 offset:3232                         // 00000000542C: D81A0CA0 0000C70D
	ds_write_b32 v13, v200 offset:4352                         // 000000005434: D81A1100 0000C80D
	ds_write_b32 v13, v201 offset:5408                         // 00000000543C: D81A1520 0000C90D
	ds_write_b32 v13, v202 offset:6528                         // 000000005444: D81A1980 0000CA0D
	ds_write_b32 v13, v203 offset:7584                         // 00000000544C: D81A1DA0 0000CB0D
	s_waitcnt lgkmcnt(0)                                       // 000000005454: BF8CC07F
	s_barrier                                                  // 000000005458: BF8A0000
	ds_read_b128 a[88:91], v24                                 // 00000000545C: DBFE0000 58000018
	ds_read_b128 a[92:95], v24 offset:512                      // 000000005464: DBFE0200 5C000018
	s_waitcnt vmcnt(8) lgkmcnt(0)                              // 00000000546C: BF8C0078
	s_barrier                                                  // 000000005470: BF8A0000
	buffer_load_dword v11, s[24:27], 0 idxen lds               // 000000005474: E0512000 8006000B
	s_mov_b32 m0, s81                                          // 00000000547C: BEFC0051
	v_add_u32_e32 v11, s69, v11                                // 000000005480: 68161645
	v_perm_b32 v100, v37, v36, s63                             // 000000005484: D1ED0064 00FE4925
	v_perm_b32 v101, v37, v36, s64                             // 00000000548C: D1ED0065 01024925
	v_perm_b32 v102, v39, v38, s63                             // 000000005494: D1ED0066 00FE4D27
	v_perm_b32 v103, v39, v38, s64                             // 00000000549C: D1ED0067 01024D27
	ds_write_b32 v15, v100 offset:4352                         // 0000000054A4: D81A1100 0000640F
	ds_write_b32 v15, v101 offset:5408                         // 0000000054AC: D81A1520 0000650F
	ds_write_b32 v15, v102 offset:6528                         // 0000000054B4: D81A1980 0000660F
	ds_write_b32 v15, v103 offset:7584                         // 0000000054BC: D81A1DA0 0000670F
	ds_write_b32 v13, v36                                      // 0000000054C4: D81A0000 0000240D
	ds_write_b32 v13, v37 offset:1056                          // 0000000054CC: D81A0420 0000250D
	ds_write_b32 v13, v38 offset:2176                          // 0000000054D4: D81A0880 0000260D
	ds_write_b32 v13, v39 offset:3232                          // 0000000054DC: D81A0CA0 0000270D
	buffer_load_dword v11, s[24:27], 0 idxen lds               // 0000000054E4: E0512000 8006000B
	s_add_u32 s60, 64, s59                                     // 0000000054EC: 803C3BC0
	s_cmp_lt_u32 s60, s58                                      // 0000000054F0: BF0A3A3C
	s_cselect_b32 s69, s69, 0                                  // 0000000054F4: 85458045
	s_mov_b32 m0, s80                                          // 0000000054F8: BEFC0050
	v_add_u32_e32 v11, s69, v11                                // 0000000054FC: 68161645
	v_perm_b32 v104, v45, v44, s63                             // 000000005500: D1ED0068 00FE592D
	v_perm_b32 v105, v45, v44, s64                             // 000000005508: D1ED0069 0102592D
	v_perm_b32 v106, v47, v46, s63                             // 000000005510: D1ED006A 00FE5D2F
	v_perm_b32 v107, v47, v46, s64                             // 000000005518: D1ED006B 01025D2F
	ds_write_b32 v15, v104 offset:13056                        // 000000005520: D81A3300 0000680F
	ds_write_b32 v15, v105 offset:14112                        // 000000005528: D81A3720 0000690F
	ds_write_b32 v15, v106 offset:15232                        // 000000005530: D81A3B80 00006A0F
	ds_write_b32 v15, v107 offset:16288                        // 000000005538: D81A3FA0 00006B0F
	ds_write_b32 v13, v44 offset:8704                          // 000000005540: D81A2200 00002C0D
	ds_write_b32 v13, v45 offset:9760                          // 000000005548: D81A2620 00002D0D
	ds_write_b32 v13, v46 offset:10880                         // 000000005550: D81A2A80 00002E0D
	ds_write_b32 v13, v47 offset:11936                         // 000000005558: D81A2EA0 00002F0D
	s_waitcnt vmcnt(1) lgkmcnt(0)                              // 000000005560: BF8C0071
	s_barrier                                                  // 000000005564: BF8A0000
	ds_read_b128 a[96:99], v12                                 // 000000005568: DBFE0000 6000000C
	ds_read_b128 a[100:103], v12 offset:512                    // 000000005570: DBFE0200 6400000C
	ds_read_b128 a[104:107], v12 offset:2176                   // 000000005578: DBFE0880 6800000C
	ds_read_b128 a[108:111], v12 offset:2688                   // 000000005580: DBFE0A80 6C00000C
	ds_read_b128 v[108:111], v12 offset:8704                   // 000000005588: D9FE2200 6C00000C
	ds_read_b128 v[112:115], v12 offset:9216                   // 000000005590: D9FE2400 7000000C
	ds_read_b128 v[116:119], v12 offset:10880                  // 000000005598: D9FE2A80 7400000C
	ds_read_b128 v[120:123], v12 offset:11392                  // 0000000055A0: D9FE2C80 7800000C
	ds_read_b32 v140, v23 offset:39424                         // 0000000055A8: D86C9A00 8C000017
	ds_read_b32 v144, v23 offset:39488                         // 0000000055B0: D86C9A40 90000017
	ds_read_b32 v176, v23 offset:39680                         // 0000000055B8: D86C9B00 B0000017
	ds_read_b32 v177, v23 offset:39744                         // 0000000055C0: D86C9B40 B1000017
	v_accvgpr_write_b32 a112, 0                                // 0000000055C8: D3D94070 18000080
	v_mov_b32_e32 v180, 0                                      // 0000000055D0: 7F680280
	v_accvgpr_write_b32 a113, 0                                // 0000000055D4: D3D94071 18000080
	v_mov_b32_e32 v181, 0                                      // 0000000055DC: 7F6A0280
	v_accvgpr_write_b32 a114, 0                                // 0000000055E0: D3D94072 18000080
	v_mov_b32_e32 v182, 0                                      // 0000000055E8: 7F6C0280
	v_accvgpr_write_b32 a115, 0                                // 0000000055EC: D3D94073 18000080
	v_mov_b32_e32 v183, 0                                      // 0000000055F4: 7F6E0280
	v_accvgpr_write_b32 a116, 0                                // 0000000055F8: D3D94074 18000080
	v_mov_b32_e32 v184, 0                                      // 000000005600: 7F700280
	v_accvgpr_write_b32 a117, 0                                // 000000005604: D3D94075 18000080
	v_mov_b32_e32 v185, 0                                      // 00000000560C: 7F720280
	v_accvgpr_write_b32 a118, 0                                // 000000005610: D3D94076 18000080
	v_mov_b32_e32 v186, 0                                      // 000000005618: 7F740280
	v_accvgpr_write_b32 a119, 0                                // 00000000561C: D3D94077 18000080
	v_mov_b32_e32 v187, 0                                      // 000000005624: 7F760280
	v_accvgpr_write_b32 a120, 0                                // 000000005628: D3D94078 18000080
	v_mov_b32_e32 v188, 0                                      // 000000005630: 7F780280
	v_accvgpr_write_b32 a121, 0                                // 000000005634: D3D94079 18000080
	v_mov_b32_e32 v189, 0                                      // 00000000563C: 7F7A0280
	v_accvgpr_write_b32 a122, 0                                // 000000005640: D3D9407A 18000080
	v_mov_b32_e32 v190, 0                                      // 000000005648: 7F7C0280
	v_accvgpr_write_b32 a123, 0                                // 00000000564C: D3D9407B 18000080
	v_mov_b32_e32 v191, 0                                      // 000000005654: 7F7E0280
	v_accvgpr_write_b32 a124, 0                                // 000000005658: D3D9407C 18000080
	v_mov_b32_e32 v192, 0                                      // 000000005660: 7F800280
	v_accvgpr_write_b32 a125, 0                                // 000000005664: D3D9407D 18000080
	v_mov_b32_e32 v193, 0                                      // 00000000566C: 7F820280
	v_accvgpr_write_b32 a126, 0                                // 000000005670: D3D9407E 18000080
	v_mov_b32_e32 v194, 0                                      // 000000005678: 7F840280
	v_accvgpr_write_b32 a127, 0                                // 00000000567C: D3D9407F 18000080
	v_mov_b32_e32 v195, 0                                      // 000000005684: 7F860280
	v_accvgpr_write_b32 a128, 0                                // 000000005688: D3D94080 18000080
	v_mov_b32_e32 v196, 0                                      // 000000005690: 7F880280
	v_accvgpr_write_b32 a129, 0                                // 000000005694: D3D94081 18000080
	v_mov_b32_e32 v197, 0                                      // 00000000569C: 7F8A0280
	v_accvgpr_write_b32 a130, 0                                // 0000000056A0: D3D94082 18000080
	v_mov_b32_e32 v198, 0                                      // 0000000056A8: 7F8C0280
	v_accvgpr_write_b32 a131, 0                                // 0000000056AC: D3D94083 18000080
	v_mov_b32_e32 v199, 0                                      // 0000000056B4: 7F8E0280
	v_accvgpr_write_b32 a132, 0                                // 0000000056B8: D3D94084 18000080
	v_mov_b32_e32 v200, 0                                      // 0000000056C0: 7F900280
	v_accvgpr_write_b32 a133, 0                                // 0000000056C4: D3D94085 18000080
	v_mov_b32_e32 v201, 0                                      // 0000000056CC: 7F920280
	v_accvgpr_write_b32 a134, 0                                // 0000000056D0: D3D94086 18000080
	v_mov_b32_e32 v202, 0                                      // 0000000056D8: 7F940280
	v_accvgpr_write_b32 a135, 0                                // 0000000056DC: D3D94087 18000080
	v_mov_b32_e32 v203, 0                                      // 0000000056E4: 7F960280
	v_accvgpr_write_b32 a136, 0                                // 0000000056E8: D3D94088 18000080
	v_mov_b32_e32 v204, 0                                      // 0000000056F0: 7F980280
	v_accvgpr_write_b32 a137, 0                                // 0000000056F4: D3D94089 18000080
	v_mov_b32_e32 v205, 0                                      // 0000000056FC: 7F9A0280
	v_accvgpr_write_b32 a138, 0                                // 000000005700: D3D9408A 18000080
	v_mov_b32_e32 v206, 0                                      // 000000005708: 7F9C0280
	v_accvgpr_write_b32 a139, 0                                // 00000000570C: D3D9408B 18000080
	v_mov_b32_e32 v207, 0                                      // 000000005714: 7F9E0280
	v_accvgpr_write_b32 a140, 0                                // 000000005718: D3D9408C 18000080
	v_mov_b32_e32 v208, 0                                      // 000000005720: 7FA00280
	v_accvgpr_write_b32 a141, 0                                // 000000005724: D3D9408D 18000080
	v_mov_b32_e32 v209, 0                                      // 00000000572C: 7FA20280
	v_accvgpr_write_b32 a142, 0                                // 000000005730: D3D9408E 18000080
	v_mov_b32_e32 v210, 0                                      // 000000005738: 7FA40280
	v_accvgpr_write_b32 a143, 0                                // 00000000573C: D3D9408F 18000080
	v_mov_b32_e32 v211, 0                                      // 000000005744: 7FA60280
	v_accvgpr_write_b32 a144, 0                                // 000000005748: D3D94090 18000080
	v_mov_b32_e32 v212, 0                                      // 000000005750: 7FA80280
	v_accvgpr_write_b32 a145, 0                                // 000000005754: D3D94091 18000080
	v_mov_b32_e32 v213, 0                                      // 00000000575C: 7FAA0280
	v_accvgpr_write_b32 a146, 0                                // 000000005760: D3D94092 18000080
	v_mov_b32_e32 v214, 0                                      // 000000005768: 7FAC0280
	v_accvgpr_write_b32 a147, 0                                // 00000000576C: D3D94093 18000080
	v_mov_b32_e32 v215, 0                                      // 000000005774: 7FAE0280
	v_accvgpr_write_b32 a148, 0                                // 000000005778: D3D94094 18000080
	v_mov_b32_e32 v216, 0                                      // 000000005780: 7FB00280
	v_accvgpr_write_b32 a149, 0                                // 000000005784: D3D94095 18000080
	v_mov_b32_e32 v217, 0                                      // 00000000578C: 7FB20280
	v_accvgpr_write_b32 a150, 0                                // 000000005790: D3D94096 18000080
	v_mov_b32_e32 v218, 0                                      // 000000005798: 7FB40280
	v_accvgpr_write_b32 a151, 0                                // 00000000579C: D3D94097 18000080
	v_mov_b32_e32 v219, 0                                      // 0000000057A4: 7FB60280
	v_accvgpr_write_b32 a152, 0                                // 0000000057A8: D3D94098 18000080
	v_mov_b32_e32 v220, 0                                      // 0000000057B0: 7FB80280
	v_accvgpr_write_b32 a153, 0                                // 0000000057B4: D3D94099 18000080
	v_mov_b32_e32 v221, 0                                      // 0000000057BC: 7FBA0280
	v_accvgpr_write_b32 a154, 0                                // 0000000057C0: D3D9409A 18000080
	v_mov_b32_e32 v222, 0                                      // 0000000057C8: 7FBC0280
	v_accvgpr_write_b32 a155, 0                                // 0000000057CC: D3D9409B 18000080
	v_mov_b32_e32 v223, 0                                      // 0000000057D4: 7FBE0280
	v_accvgpr_write_b32 a156, 0                                // 0000000057D8: D3D9409C 18000080
	v_mov_b32_e32 v224, 0                                      // 0000000057E0: 7FC00280
	v_accvgpr_write_b32 a157, 0                                // 0000000057E4: D3D9409D 18000080
	v_mov_b32_e32 v225, 0                                      // 0000000057EC: 7FC20280
	v_accvgpr_write_b32 a158, 0                                // 0000000057F0: D3D9409E 18000080
	v_mov_b32_e32 v226, 0                                      // 0000000057F8: 7FC40280
	v_accvgpr_write_b32 a159, 0                                // 0000000057FC: D3D9409F 18000080
	v_mov_b32_e32 v227, 0                                      // 000000005804: 7FC60280
	v_mov_b32_e32 v156, 0                                      // 000000005808: 7F380280
	v_mov_b32_e32 v157, 0                                      // 00000000580C: 7F3A0280
	v_mov_b32_e32 v158, 0                                      // 000000005810: 7F3C0280
	v_mov_b32_e32 v159, 0                                      // 000000005814: 7F3E0280
	v_mov_b32_e32 v160, 0                                      // 000000005818: 7F400280
	v_mov_b32_e32 v161, 0                                      // 00000000581C: 7F420280
	v_mov_b32_e32 v162, 0                                      // 000000005820: 7F440280
	v_mov_b32_e32 v163, 0                                      // 000000005824: 7F460280
	v_mov_b32_e32 v148, 0                                      // 000000005828: 7F280280
	v_mov_b32_e32 v149, 0                                      // 00000000582C: 7F2A0280
	v_mov_b32_e32 v150, 0                                      // 000000005830: 7F2C0280
	v_mov_b32_e32 v151, 0                                      // 000000005834: 7F2E0280
	v_mov_b32_e32 v152, 0                                      // 000000005838: 7F300280
	v_mov_b32_e32 v153, 0                                      // 00000000583C: 7F320280
	v_mov_b32_e32 v154, 0                                      // 000000005840: 7F340280
	v_mov_b32_e32 v155, 0                                      // 000000005844: 7F360280
	s_waitcnt lgkmcnt(0)                                       // 000000005848: BF8CC07F
	s_barrier                                                  // 00000000584C: BF8A0000
	buffer_load_dword v36, v1, s[8:11], 0 idxen                // 000000005850: E0502000 80022401
	buffer_load_dword v37, v2, s[8:11], 0 idxen                // 000000005858: E0502000 80022502
	;; [unrolled: 1-line block ×4, first 2 shown]
	buffer_load_dword v44, v232, s[20:23], 0 idxen             // 000000005870: E0502000 80052CE8
	buffer_load_dword v45, v233, s[20:23], 0 idxen             // 000000005878: E0502000 80052DE9
	buffer_load_dword v46, v234, s[20:23], 0 idxen             // 000000005880: E0502000 80052EEA
	buffer_load_dword v47, v235, s[20:23], 0 idxen             // 000000005888: E0502000 80052FEB
	buffer_load_dword v11, s[24:27], 0 idxen lds               // 000000005890: E0512000 8006000B
	s_add_u32 s60, 0x60, s59                                   // 000000005898: 803C3BFF 00000060
	s_cmp_lt_u32 s60, s58                                      // 0000000058A0: BF0A3A3C
	s_cselect_b32 s68, s68, 0                                  // 0000000058A4: 85448044
	s_cselect_b32 s100, s100, 0                                // 0000000058A8: 85648064
	s_cselect_b32 s69, s69, 0                                  // 0000000058AC: 85458045
	s_mov_b32 m0, s81                                          // 0000000058B0: BEFC0051
	v_add_u32_e32 v11, s69, v11                                // 0000000058B4: 68161645
	v_add_u32_e32 v1, s68, v1                                  // 0000000058B8: 68020244
	v_add_u32_e32 v2, s68, v2                                  // 0000000058BC: 68040444
	v_add_u32_e32 v3, s68, v3                                  // 0000000058C0: 68060644
	v_add_u32_e32 v4, s68, v4                                  // 0000000058C4: 68080844
	v_add_u32_e32 v232, s100, v232                             // 0000000058C8: 69D1D064
	v_add_u32_e32 v233, s100, v233                             // 0000000058CC: 69D3D264
	v_add_u32_e32 v234, s100, v234                             // 0000000058D0: 69D5D464
	v_add_u32_e32 v235, s100, v235                             // 0000000058D4: 69D7D664
	v_mul_f32_e32 v140, s48, v140                              // 0000000058D8: 0B191830
	v_mul_f32_e32 v144, s48, v144                              // 0000000058DC: 0B212030
	v_perm_b32 v100, v41, v40, s63                             // 0000000058E0: D1ED0064 00FE5129
	v_perm_b32 v101, v41, v40, s64                             // 0000000058E8: D1ED0065 01025129
	v_perm_b32 v102, v43, v42, s63                             // 0000000058F0: D1ED0066 00FE552B
	v_perm_b32 v103, v43, v42, s64                             // 0000000058F8: D1ED0067 0102552B
	v_perm_b32 v104, v49, v48, s63                             // 000000005900: D1ED0068 00FE6131
	v_perm_b32 v105, v49, v48, s64                             // 000000005908: D1ED0069 01026131
	v_perm_b32 v106, v51, v50, s63                             // 000000005910: D1ED006A 00FE6533
	v_perm_b32 v107, v51, v50, s64                             // 000000005918: D1ED006B 01026533
	v_mov_b32_dpp v143, v140 quad_perm:[3,3,3,3] row_mask:0xf bank_mask:0xf// 000000005920: 7F1E02FA FF00FF8C
	v_mov_b32_dpp v142, v140 quad_perm:[2,2,2,2] row_mask:0xf bank_mask:0xf// 000000005928: 7F1C02FA FF00AA8C
	v_mov_b32_dpp v141, v140 quad_perm:[1,1,1,1] row_mask:0xf bank_mask:0xf// 000000005930: 7F1A02FA FF00558C
	v_mov_b32_dpp v140, v140 quad_perm:[0,0,0,0] row_mask:0xf bank_mask:0xf// 000000005938: 7F1802FA FF00008C
	v_mov_b32_dpp v147, v144 quad_perm:[3,3,3,3] row_mask:0xf bank_mask:0xf// 000000005940: 7F2602FA FF00FF90
	v_mov_b32_dpp v146, v144 quad_perm:[2,2,2,2] row_mask:0xf bank_mask:0xf// 000000005948: 7F2402FA FF00AA90
	v_mov_b32_dpp v145, v144 quad_perm:[1,1,1,1] row_mask:0xf bank_mask:0xf// 000000005950: 7F2202FA FF005590
	v_mov_b32_dpp v144, v144 quad_perm:[0,0,0,0] row_mask:0xf bank_mask:0xf// 000000005958: 7F2002FA FF000090
	s_waitcnt vmcnt(9)                                         // 000000005960: BF8C0F79
	s_barrier                                                  // 000000005964: BF8A0000
	s_cmp_lt_i32 s46, 2                                        // 000000005968: BF04822E
	s_cbranch_scc0 label_1108                                  // 00000000596C: BF840A9A
	s_nop 0                                                    // 000000005970: BF800000
	s_nop 0                                                    // 000000005974: BF800000

0000000000005978 <label_065E>:
	s_waitcnt lgkmcnt(4)                                       // 000000005978: BF8CC47F
	s_barrier                                                  // 00000000597C: BF8A0000
	v_mfma_f32_16x16x16_bf16 v[52:55], a[96:97], a[0:1], 0     // 000000005980: D3E10034 1A020160
	ds_write_b32 v13, v48 offset:8704                          // 000000005988: D81A2200 0000300D
	ds_write_b32 v13, v49 offset:9760                          // 000000005990: D81A2620 0000310D
	v_mfma_f32_16x16x16_bf16 v[52:55], a[98:99], a[2:3], v[52:55]// 000000005998: D3E10034 1CD20562
	v_mul_f32_e32 v148, s47, v148                              // 0000000059A0: 0B29282F
	v_mul_f32_e32 v149, s47, v149                              // 0000000059A4: 0B2B2A2F
	v_mfma_f32_16x16x16_bf16 v[52:55], a[100:101], a[4:5], v[52:55]// 0000000059A8: D3E10034 1CD20964
	ds_write_b32 v13, v50 offset:10880                         // 0000000059B0: D81A2A80 0000320D
	ds_write_b32 v13, v51 offset:11936                         // 0000000059B8: D81A2EA0 0000330D
	v_mfma_f32_16x16x16_bf16 v[52:55], a[102:103], a[6:7], v[52:55]// 0000000059C0: D3E10034 1CD20D66
	v_mul_f32_e32 v150, s47, v150                              // 0000000059C8: 0B2D2C2F
	v_mul_f32_e32 v151, s47, v151                              // 0000000059CC: 0B2F2E2F
	v_mfma_f32_16x16x16_bf16 v[56:59], a[96:97], a[8:9], 0     // 0000000059D0: D3E10038 1A021160
	ds_write_b64 v22, v[148:149] offset:31232                  // 0000000059D8: D89A7A00 00009416
	v_mfma_f32_16x16x16_bf16 v[56:59], a[98:99], a[10:11], v[56:59]// 0000000059E0: D3E10038 1CE21562
	v_mul_f32_e32 v152, s47, v152                              // 0000000059E8: 0B31302F
	v_mul_f32_e32 v153, s47, v153                              // 0000000059EC: 0B33322F
	v_mfma_f32_16x16x16_bf16 v[56:59], a[100:101], a[12:13], v[56:59]// 0000000059F0: D3E10038 1CE21964
	ds_write_b64 v22, v[150:151] offset:31744                  // 0000000059F8: D89A7C00 00009616
	v_mfma_f32_16x16x16_bf16 v[56:59], a[102:103], a[14:15], v[56:59]// 000000005A00: D3E10038 1CE21D66
	v_mul_f32_e32 v154, s47, v154                              // 000000005A08: 0B35342F
	v_mul_f32_e32 v155, s47, v155                              // 000000005A0C: 0B37362F
	v_mfma_f32_16x16x16_bf16 v[60:63], a[96:97], a[16:17], 0   // 000000005A10: D3E1003C 1A022160
	ds_write_b64 v22, v[152:153] offset:32256                  // 000000005A18: D89A7E00 00009816
	v_mfma_f32_16x16x16_bf16 v[60:63], a[98:99], a[18:19], v[60:63]// 000000005A20: D3E1003C 1CF22562
	buffer_atomic_add_f32 v160, v8, s[32:35], 0 idxen          // 000000005A28: E1342000 8008A008
	v_mfma_f32_16x16x16_bf16 v[60:63], a[100:101], a[20:21], v[60:63]// 000000005A30: D3E1003C 1CF22964
	ds_write_b64 v22, v[154:155] offset:32768                  // 000000005A38: D89A8000 00009A16
	v_mfma_f32_16x16x16_bf16 v[60:63], a[102:103], a[22:23], v[60:63]// 000000005A40: D3E1003C 1CF22D66
	v_mfma_f32_16x16x16_bf16 v[64:67], a[104:105], a[0:1], 0   // 000000005A48: D3E10040 1A020168
	ds_read_b128 v[124:127], v14 offset:13056                  // 000000005A50: D9FE3300 7C00000E
	ds_write_b32 v13, v40                                      // 000000005A58: D81A0000 0000280D
	v_mfma_f32_16x16x16_bf16 v[64:67], a[106:107], a[2:3], v[64:67]// 000000005A60: D3E10040 1D02056A
	buffer_atomic_add_f32 v161, v9, s[32:35], 0 idxen          // 000000005A68: E1342000 8008A109
	v_mfma_f32_16x16x16_bf16 v[64:67], a[108:109], a[4:5], v[64:67]// 000000005A70: D3E10040 1D02096C
	v_mfma_f32_16x16x16_bf16 v[64:67], a[110:111], a[6:7], v[64:67]// 000000005A78: D3E10040 1D020D6E
	ds_read_b128 v[128:131], v14 offset:13568                  // 000000005A80: D9FE3500 8000000E
	ds_write_b32 v13, v41 offset:1056                          // 000000005A88: D81A0420 0000290D
	v_mfma_f32_16x16x16_bf16 v[68:71], a[104:105], a[8:9], 0   // 000000005A90: D3E10044 1A021168
	buffer_atomic_add_f32 v162, v8, s[32:35], 0 idxen offset:128// 000000005A98: E1342080 8008A208
	v_mfma_f32_16x16x16_bf16 v[68:71], a[106:107], a[10:11], v[68:71]// 000000005AA0: D3E10044 1D12156A
	v_mfma_f32_16x16x16_bf16 v[68:71], a[108:109], a[12:13], v[68:71]// 000000005AA8: D3E10044 1D12196C
	ds_read_b128 v[132:135], v14 offset:15232                  // 000000005AB0: D9FE3B80 8400000E
	ds_write_b32 v13, v42 offset:2176                          // 000000005AB8: D81A0880 00002A0D
	v_mfma_f32_16x16x16_bf16 v[68:71], a[110:111], a[14:15], v[68:71]// 000000005AC0: D3E10044 1D121D6E
	v_mfma_f32_16x16x16_bf16 v[72:75], a[104:105], a[16:17], 0 // 000000005AC8: D3E10048 1A022168
	buffer_atomic_add_f32 v163, v9, s[32:35], 0 idxen offset:128// 000000005AD0: E1342080 8008A309
	v_mfma_f32_16x16x16_bf16 v[72:75], a[106:107], a[18:19], v[72:75]// 000000005AD8: D3E10048 1D22256A
	ds_read_b128 v[136:139], v14 offset:15744                  // 000000005AE0: D9FE3D80 8800000E
	ds_write_b32 v13, v43 offset:3232                          // 000000005AE8: D81A0CA0 00002B0D
	v_mfma_f32_16x16x16_bf16 v[72:75], a[108:109], a[20:21], v[72:75]// 000000005AF0: D3E10048 1D22296C
	v_mfma_f32_16x16x16_bf16 v[72:75], a[110:111], a[22:23], v[72:75]// 000000005AF8: D3E10048 1D222D6E
	s_cmp_lt_i32 s74, 12                                       // 000000005B00: BF048C4A
	s_cbranch_scc0 label_07A8                                  // 000000005B04: BF8400E6
	s_mov_b32 s60, 0xffe0fffe                                  // 000000005B08: BEBC00FF FFE0FFFE
	s_mov_b32 s61, 0xe000fe00                                  // 000000005B10: BEBD00FF E000FE00
	s_nop 0                                                    // 000000005B18: BF800000
	s_add_u32 s62, 0, s46                                      // 000000005B1C: 803E2E80
	s_cmp_lt_i32 s74, s62                                      // 000000005B20: BF043E4A
	s_cbranch_scc1 label_06F2                                  // 000000005B24: BF850028
	s_cmp_eq_i32 s74, s62                                      // 000000005B28: BF003E4A
	s_cbranch_scc1 label_06D7                                  // 000000005B2C: BF85000B
	s_add_u32 s62, 4, s46                                      // 000000005B30: 803E2E84
	s_cmp_lt_i32 s74, s62                                      // 000000005B34: BF043E4A
	s_cbranch_scc1 label_0712                                  // 000000005B38: BF850043
	s_cmp_eq_i32 s74, s62                                      // 000000005B3C: BF003E4A
	s_cbranch_scc1 label_06F7                                  // 000000005B40: BF850026
	s_add_u32 s62, 8, s46                                      // 000000005B44: 803E2E88
	s_cmp_lt_i32 s74, s62                                      // 000000005B48: BF043E4A
	s_cbranch_scc1 label_0732                                  // 000000005B4C: BF85005E
	s_cmp_eq_i32 s74, s62                                      // 000000005B50: BF003E4A
	s_cbranch_scc1 label_0717                                  // 000000005B54: BF850041
	s_branch label_0737                                        // 000000005B58: BF820060

0000000000005b5c <label_06D7>:
	v_cndmask_b32_e64 v52, v52, v178, s[60:61]                 // 000000005B5C: D1000034 00F36534
	s_lshl_b32 s60, s60, 1                                     // 000000005B64: 8E3C813C
	s_lshl_b32 s61, s61, 1                                     // 000000005B68: 8E3D813D
	s_and_b32 s60, 0xfffeffff, s60                             // 000000005B6C: 863C3CFF FFFEFFFF
	s_and_b32 s61, 0xfffeffff, s61                             // 000000005B74: 863D3DFF FFFEFFFF
	v_cndmask_b32_e64 v53, v53, v178, s[60:61]                 // 000000005B7C: D1000035 00F36535
	s_lshl_b32 s60, s60, 1                                     // 000000005B84: 8E3C813C
	s_lshl_b32 s61, s61, 1                                     // 000000005B88: 8E3D813D
	s_and_b32 s60, 0xfffeffff, s60                             // 000000005B8C: 863C3CFF FFFEFFFF
	s_and_b32 s61, 0xfffeffff, s61                             // 000000005B94: 863D3DFF FFFEFFFF
	v_cndmask_b32_e64 v54, v54, v178, s[60:61]                 // 000000005B9C: D1000036 00F36536
	s_lshl_b32 s60, s60, 1                                     // 000000005BA4: 8E3C813C
	s_lshl_b32 s61, s61, 1                                     // 000000005BA8: 8E3D813D
	s_and_b32 s60, 0xfffeffff, s60                             // 000000005BAC: 863C3CFF FFFEFFFF
	s_and_b32 s61, 0xfffeffff, s61                             // 000000005BB4: 863D3DFF FFFEFFFF
	v_cndmask_b32_e64 v55, v55, v178, s[60:61]                 // 000000005BBC: D1000037 00F36537
	s_branch label_0712                                        // 000000005BC4: BF820020

0000000000005bc8 <label_06F2>:
	v_mov_b32_e32 v52, v178                                    // 000000005BC8: 7E6803B2
	v_mov_b32_e32 v53, v178                                    // 000000005BCC: 7E6A03B2
	v_mov_b32_e32 v54, v178                                    // 000000005BD0: 7E6C03B2
	v_mov_b32_e32 v55, v178                                    // 000000005BD4: 7E6E03B2
	s_branch label_0712                                        // 000000005BD8: BF82001B

0000000000005bdc <label_06F7>:
	v_cndmask_b32_e64 v56, v56, v178, s[60:61]                 // 000000005BDC: D1000038 00F36538
	s_lshl_b32 s60, s60, 1                                     // 000000005BE4: 8E3C813C
	s_lshl_b32 s61, s61, 1                                     // 000000005BE8: 8E3D813D
	s_and_b32 s60, 0xfffeffff, s60                             // 000000005BEC: 863C3CFF FFFEFFFF
	s_and_b32 s61, 0xfffeffff, s61                             // 000000005BF4: 863D3DFF FFFEFFFF
	v_cndmask_b32_e64 v57, v57, v178, s[60:61]                 // 000000005BFC: D1000039 00F36539
	s_lshl_b32 s60, s60, 1                                     // 000000005C04: 8E3C813C
	s_lshl_b32 s61, s61, 1                                     // 000000005C08: 8E3D813D
	s_and_b32 s60, 0xfffeffff, s60                             // 000000005C0C: 863C3CFF FFFEFFFF
	s_and_b32 s61, 0xfffeffff, s61                             // 000000005C14: 863D3DFF FFFEFFFF
	v_cndmask_b32_e64 v58, v58, v178, s[60:61]                 // 000000005C1C: D100003A 00F3653A
	s_lshl_b32 s60, s60, 1                                     // 000000005C24: 8E3C813C
	s_lshl_b32 s61, s61, 1                                     // 000000005C28: 8E3D813D
	s_and_b32 s60, 0xfffeffff, s60                             // 000000005C2C: 863C3CFF FFFEFFFF
	s_and_b32 s61, 0xfffeffff, s61                             // 000000005C34: 863D3DFF FFFEFFFF
	v_cndmask_b32_e64 v59, v59, v178, s[60:61]                 // 000000005C3C: D100003B 00F3653B
	s_branch label_0732                                        // 000000005C44: BF820020

0000000000005c48 <label_0712>:
	v_mov_b32_e32 v56, v178                                    // 000000005C48: 7E7003B2
	v_mov_b32_e32 v57, v178                                    // 000000005C4C: 7E7203B2
	v_mov_b32_e32 v58, v178                                    // 000000005C50: 7E7403B2
	v_mov_b32_e32 v59, v178                                    // 000000005C54: 7E7603B2
	s_branch label_0732                                        // 000000005C58: BF82001B

0000000000005c5c <label_0717>:
	v_cndmask_b32_e64 v60, v60, v178, s[60:61]                 // 000000005C5C: D100003C 00F3653C
	s_lshl_b32 s60, s60, 1                                     // 000000005C64: 8E3C813C
	s_lshl_b32 s61, s61, 1                                     // 000000005C68: 8E3D813D
	s_and_b32 s60, 0xfffeffff, s60                             // 000000005C6C: 863C3CFF FFFEFFFF
	s_and_b32 s61, 0xfffeffff, s61                             // 000000005C74: 863D3DFF FFFEFFFF
	v_cndmask_b32_e64 v61, v61, v178, s[60:61]                 // 000000005C7C: D100003D 00F3653D
	s_lshl_b32 s60, s60, 1                                     // 000000005C84: 8E3C813C
	s_lshl_b32 s61, s61, 1                                     // 000000005C88: 8E3D813D
	s_and_b32 s60, 0xfffeffff, s60                             // 000000005C8C: 863C3CFF FFFEFFFF
	s_and_b32 s61, 0xfffeffff, s61                             // 000000005C94: 863D3DFF FFFEFFFF
	v_cndmask_b32_e64 v62, v62, v178, s[60:61]                 // 000000005C9C: D100003E 00F3653E
	s_lshl_b32 s60, s60, 1                                     // 000000005CA4: 8E3C813C
	s_lshl_b32 s61, s61, 1                                     // 000000005CA8: 8E3D813D
	s_and_b32 s60, 0xfffeffff, s60                             // 000000005CAC: 863C3CFF FFFEFFFF
	s_and_b32 s61, 0xfffeffff, s61                             // 000000005CB4: 863D3DFF FFFEFFFF
	v_cndmask_b32_e64 v63, v63, v178, s[60:61]                 // 000000005CBC: D100003F 00F3653F
	s_branch label_0737                                        // 000000005CC4: BF820005

0000000000005cc8 <label_0732>:
	v_mov_b32_e32 v60, v178                                    // 000000005CC8: 7E7803B2
	v_mov_b32_e32 v61, v178                                    // 000000005CCC: 7E7A03B2
	v_mov_b32_e32 v62, v178                                    // 000000005CD0: 7E7C03B2
	v_mov_b32_e32 v63, v178                                    // 000000005CD4: 7E7E03B2
	s_branch label_0737                                        // 000000005CD8: BF820000

0000000000005cdc <label_0737>:
	s_addk_i32 s74, 0x1                                        // 000000005CDC: B74A0001
	s_add_u32 s62, 0, s46                                      // 000000005CE0: 803E2E80
	s_cmp_lt_i32 s74, s62                                      // 000000005CE4: BF043E4A
	s_cbranch_scc1 label_0763                                  // 000000005CE8: BF850028
	s_cmp_eq_i32 s74, s62                                      // 000000005CEC: BF003E4A
	s_cbranch_scc1 label_0748                                  // 000000005CF0: BF85000B
	s_add_u32 s62, 4, s46                                      // 000000005CF4: 803E2E84
	s_cmp_lt_i32 s74, s62                                      // 000000005CF8: BF043E4A
	s_cbranch_scc1 label_0783                                  // 000000005CFC: BF850043
	s_cmp_eq_i32 s74, s62                                      // 000000005D00: BF003E4A
	s_cbranch_scc1 label_0768                                  // 000000005D04: BF850026
	s_add_u32 s62, 8, s46                                      // 000000005D08: 803E2E88
	s_cmp_lt_i32 s74, s62                                      // 000000005D0C: BF043E4A
	s_cbranch_scc1 label_07A3                                  // 000000005D10: BF85005E
	s_cmp_eq_i32 s74, s62                                      // 000000005D14: BF003E4A
	s_cbranch_scc1 label_0788                                  // 000000005D18: BF850041
	s_branch label_07A8                                        // 000000005D1C: BF820060

0000000000005d20 <label_0748>:
	v_cndmask_b32_e64 v64, v64, v178, s[60:61]                 // 000000005D20: D1000040 00F36540
	s_lshl_b32 s60, s60, 1                                     // 000000005D28: 8E3C813C
	s_lshl_b32 s61, s61, 1                                     // 000000005D2C: 8E3D813D
	s_and_b32 s60, 0xfffeffff, s60                             // 000000005D30: 863C3CFF FFFEFFFF
	s_and_b32 s61, 0xfffeffff, s61                             // 000000005D38: 863D3DFF FFFEFFFF
	v_cndmask_b32_e64 v65, v65, v178, s[60:61]                 // 000000005D40: D1000041 00F36541
	s_lshl_b32 s60, s60, 1                                     // 000000005D48: 8E3C813C
	s_lshl_b32 s61, s61, 1                                     // 000000005D4C: 8E3D813D
	s_and_b32 s60, 0xfffeffff, s60                             // 000000005D50: 863C3CFF FFFEFFFF
	s_and_b32 s61, 0xfffeffff, s61                             // 000000005D58: 863D3DFF FFFEFFFF
	v_cndmask_b32_e64 v66, v66, v178, s[60:61]                 // 000000005D60: D1000042 00F36542
	s_lshl_b32 s60, s60, 1                                     // 000000005D68: 8E3C813C
	s_lshl_b32 s61, s61, 1                                     // 000000005D6C: 8E3D813D
	s_and_b32 s60, 0xfffeffff, s60                             // 000000005D70: 863C3CFF FFFEFFFF
	s_and_b32 s61, 0xfffeffff, s61                             // 000000005D78: 863D3DFF FFFEFFFF
	v_cndmask_b32_e64 v67, v67, v178, s[60:61]                 // 000000005D80: D1000043 00F36543
	s_branch label_0783                                        // 000000005D88: BF820020

0000000000005d8c <label_0763>:
	v_mov_b32_e32 v64, v178                                    // 000000005D8C: 7E8003B2
	v_mov_b32_e32 v65, v178                                    // 000000005D90: 7E8203B2
	v_mov_b32_e32 v66, v178                                    // 000000005D94: 7E8403B2
	v_mov_b32_e32 v67, v178                                    // 000000005D98: 7E8603B2
	s_branch label_0783                                        // 000000005D9C: BF82001B

0000000000005da0 <label_0768>:
	v_cndmask_b32_e64 v68, v68, v178, s[60:61]                 // 000000005DA0: D1000044 00F36544
	s_lshl_b32 s60, s60, 1                                     // 000000005DA8: 8E3C813C
	s_lshl_b32 s61, s61, 1                                     // 000000005DAC: 8E3D813D
	s_and_b32 s60, 0xfffeffff, s60                             // 000000005DB0: 863C3CFF FFFEFFFF
	s_and_b32 s61, 0xfffeffff, s61                             // 000000005DB8: 863D3DFF FFFEFFFF
	v_cndmask_b32_e64 v69, v69, v178, s[60:61]                 // 000000005DC0: D1000045 00F36545
	s_lshl_b32 s60, s60, 1                                     // 000000005DC8: 8E3C813C
	s_lshl_b32 s61, s61, 1                                     // 000000005DCC: 8E3D813D
	s_and_b32 s60, 0xfffeffff, s60                             // 000000005DD0: 863C3CFF FFFEFFFF
	s_and_b32 s61, 0xfffeffff, s61                             // 000000005DD8: 863D3DFF FFFEFFFF
	v_cndmask_b32_e64 v70, v70, v178, s[60:61]                 // 000000005DE0: D1000046 00F36546
	s_lshl_b32 s60, s60, 1                                     // 000000005DE8: 8E3C813C
	s_lshl_b32 s61, s61, 1                                     // 000000005DEC: 8E3D813D
	s_and_b32 s60, 0xfffeffff, s60                             // 000000005DF0: 863C3CFF FFFEFFFF
	s_and_b32 s61, 0xfffeffff, s61                             // 000000005DF8: 863D3DFF FFFEFFFF
	v_cndmask_b32_e64 v71, v71, v178, s[60:61]                 // 000000005E00: D1000047 00F36547
	s_branch label_07A3                                        // 000000005E08: BF820020

0000000000005e0c <label_0783>:
	v_mov_b32_e32 v68, v178                                    // 000000005E0C: 7E8803B2
	v_mov_b32_e32 v69, v178                                    // 000000005E10: 7E8A03B2
	v_mov_b32_e32 v70, v178                                    // 000000005E14: 7E8C03B2
	v_mov_b32_e32 v71, v178                                    // 000000005E18: 7E8E03B2
	s_branch label_07A3                                        // 000000005E1C: BF82001B

0000000000005e20 <label_0788>:
	v_cndmask_b32_e64 v72, v72, v178, s[60:61]                 // 000000005E20: D1000048 00F36548
	s_lshl_b32 s60, s60, 1                                     // 000000005E28: 8E3C813C
	s_lshl_b32 s61, s61, 1                                     // 000000005E2C: 8E3D813D
	s_and_b32 s60, 0xfffeffff, s60                             // 000000005E30: 863C3CFF FFFEFFFF
	s_and_b32 s61, 0xfffeffff, s61                             // 000000005E38: 863D3DFF FFFEFFFF
	v_cndmask_b32_e64 v73, v73, v178, s[60:61]                 // 000000005E40: D1000049 00F36549
	s_lshl_b32 s60, s60, 1                                     // 000000005E48: 8E3C813C
	s_lshl_b32 s61, s61, 1                                     // 000000005E4C: 8E3D813D
	s_and_b32 s60, 0xfffeffff, s60                             // 000000005E50: 863C3CFF FFFEFFFF
	s_and_b32 s61, 0xfffeffff, s61                             // 000000005E58: 863D3DFF FFFEFFFF
	v_cndmask_b32_e64 v74, v74, v178, s[60:61]                 // 000000005E60: D100004A 00F3654A
	s_lshl_b32 s60, s60, 1                                     // 000000005E68: 8E3C813C
	s_lshl_b32 s61, s61, 1                                     // 000000005E6C: 8E3D813D
	s_and_b32 s60, 0xfffeffff, s60                             // 000000005E70: 863C3CFF FFFEFFFF
	s_and_b32 s61, 0xfffeffff, s61                             // 000000005E78: 863D3DFF FFFEFFFF
	v_cndmask_b32_e64 v75, v75, v178, s[60:61]                 // 000000005E80: D100004B 00F3654B
	s_branch label_07A8                                        // 000000005E88: BF820005

0000000000005e8c <label_07A3>:
	v_mov_b32_e32 v72, v178                                    // 000000005E8C: 7E9003B2
	v_mov_b32_e32 v73, v178                                    // 000000005E90: 7E9203B2
	v_mov_b32_e32 v74, v178                                    // 000000005E94: 7E9403B2
	v_mov_b32_e32 v75, v178                                    // 000000005E98: 7E9603B2
	s_branch label_07A8                                        // 000000005E9C: BF820000

0000000000005ea0 <label_07A8>:
	s_cmp_lt_i32 s84, 0xc0                                     // 000000005EA0: BF04FF54 000000C0
	s_cbranch_scc0 label_0821                                  // 000000005EA8: BF84006D
	s_cmp_le_i32 s84, 64                                       // 000000005EAC: BF05C054
	s_cbranch_scc1 label_07B4                                  // 000000005EB0: BF850007
	s_cmp_le_i32 s84, 0x80                                     // 000000005EB4: BF05FF54 00000080
	s_cbranch_scc1 label_07D8                                  // 000000005EBC: BF85001F
	s_cmp_lt_i32 s84, 0xc0                                     // 000000005EC0: BF04FF54 000000C0
	s_cbranch_scc1 label_07FC                                  // 000000005EC8: BF850040
	s_branch label_0821                                        // 000000005ECC: BF820064

0000000000005ed0 <label_07B4>:
	s_mov_b32 s60, 0                                           // 000000005ED0: BEBC0080
	v_and_b32_e32 v32, 15, v0                                  // 000000005ED4: 2640008F
	v_add_u32_e64 v32, v32, s60                                // 000000005ED8: D1340020 00007920
	v_mul_i32_i24_e64 v33, s46, 16                             // 000000005EE0: D1060021 0001202E
	v_add_u32_e32 v32, v32, v33                                // 000000005EE8: 68404320
	v_cmp_lt_u32_e64 s[60:61], v32, s84                        // 000000005EEC: D0C9003C 0000A920
	s_nop 1                                                    // 000000005EF4: BF800001
	v_cndmask_b32_e64 v52, v178, v52, s[60:61]                 // 000000005EF8: D1000034 00F269B2
	v_cndmask_b32_e64 v64, v178, v64, s[60:61]                 // 000000005F00: D1000040 00F281B2
	v_cndmask_b32_e64 v53, v178, v53, s[60:61]                 // 000000005F08: D1000035 00F26BB2
	v_cndmask_b32_e64 v65, v178, v65, s[60:61]                 // 000000005F10: D1000041 00F283B2
	v_cndmask_b32_e64 v54, v178, v54, s[60:61]                 // 000000005F18: D1000036 00F26DB2
	v_cndmask_b32_e64 v66, v178, v66, s[60:61]                 // 000000005F20: D1000042 00F285B2
	v_cndmask_b32_e64 v55, v178, v55, s[60:61]                 // 000000005F28: D1000037 00F26FB2
	v_cndmask_b32_e64 v67, v178, v67, s[60:61]                 // 000000005F30: D1000043 00F287B2
	s_branch label_07F3                                        // 000000005F38: BF82001B

0000000000005f3c <label_07D8>:
	s_mov_b32 s60, 64                                          // 000000005F3C: BEBC00C0
	v_and_b32_e32 v32, 15, v0                                  // 000000005F40: 2640008F
	v_add_u32_e64 v32, v32, s60                                // 000000005F44: D1340020 00007920
	v_mul_i32_i24_e64 v33, s46, 16                             // 000000005F4C: D1060021 0001202E
	v_add_u32_e32 v32, v32, v33                                // 000000005F54: 68404320
	v_cmp_lt_u32_e64 s[60:61], v32, s84                        // 000000005F58: D0C9003C 0000A920
	s_nop 1                                                    // 000000005F60: BF800001
	v_cndmask_b32_e64 v56, v178, v56, s[60:61]                 // 000000005F64: D1000038 00F271B2
	v_cndmask_b32_e64 v68, v178, v68, s[60:61]                 // 000000005F6C: D1000044 00F289B2
	v_cndmask_b32_e64 v57, v178, v57, s[60:61]                 // 000000005F74: D1000039 00F273B2
	v_cndmask_b32_e64 v69, v178, v69, s[60:61]                 // 000000005F7C: D1000045 00F28BB2
	v_cndmask_b32_e64 v58, v178, v58, s[60:61]                 // 000000005F84: D100003A 00F275B2
	v_cndmask_b32_e64 v70, v178, v70, s[60:61]                 // 000000005F8C: D1000046 00F28DB2
	v_cndmask_b32_e64 v59, v178, v59, s[60:61]                 // 000000005F94: D100003B 00F277B2
	v_cndmask_b32_e64 v71, v178, v71, s[60:61]                 // 000000005F9C: D1000047 00F28FB2
	s_branch label_0818                                        // 000000005FA4: BF820025

0000000000005fa8 <label_07F3>:
	v_mov_b32_e32 v56, v178                                    // 000000005FA8: 7E7003B2
	v_mov_b32_e32 v68, v178                                    // 000000005FAC: 7E8803B2
	v_mov_b32_e32 v57, v178                                    // 000000005FB0: 7E7203B2
	v_mov_b32_e32 v69, v178                                    // 000000005FB4: 7E8A03B2
	v_mov_b32_e32 v58, v178                                    // 000000005FB8: 7E7403B2
	v_mov_b32_e32 v70, v178                                    // 000000005FBC: 7E8C03B2
	v_mov_b32_e32 v59, v178                                    // 000000005FC0: 7E7603B2
	v_mov_b32_e32 v71, v178                                    // 000000005FC4: 7E8E03B2
	s_branch label_0818                                        // 000000005FC8: BF82001C

0000000000005fcc <label_07FC>:
	s_mov_b32 s60, 0x80                                        // 000000005FCC: BEBC00FF 00000080
	v_and_b32_e32 v32, 15, v0                                  // 000000005FD4: 2640008F
	v_add_u32_e64 v32, v32, s60                                // 000000005FD8: D1340020 00007920
	v_mul_i32_i24_e64 v33, s46, 16                             // 000000005FE0: D1060021 0001202E
	v_add_u32_e32 v32, v32, v33                                // 000000005FE8: 68404320
	v_cmp_lt_u32_e64 s[60:61], v32, s84                        // 000000005FEC: D0C9003C 0000A920
	s_nop 1                                                    // 000000005FF4: BF800001
	v_cndmask_b32_e64 v60, v178, v60, s[60:61]                 // 000000005FF8: D100003C 00F279B2
	v_cndmask_b32_e64 v72, v178, v72, s[60:61]                 // 000000006000: D1000048 00F291B2
	v_cndmask_b32_e64 v61, v178, v61, s[60:61]                 // 000000006008: D100003D 00F27BB2
	v_cndmask_b32_e64 v73, v178, v73, s[60:61]                 // 000000006010: D1000049 00F293B2
	v_cndmask_b32_e64 v62, v178, v62, s[60:61]                 // 000000006018: D100003E 00F27DB2
	v_cndmask_b32_e64 v74, v178, v74, s[60:61]                 // 000000006020: D100004A 00F295B2
	v_cndmask_b32_e64 v63, v178, v63, s[60:61]                 // 000000006028: D100003F 00F27FB2
	v_cndmask_b32_e64 v75, v178, v75, s[60:61]                 // 000000006030: D100004B 00F297B2
	s_branch label_0821                                        // 000000006038: BF820009

000000000000603c <label_0818>:
	v_mov_b32_e32 v60, v178                                    // 00000000603C: 7E7803B2
	v_mov_b32_e32 v72, v178                                    // 000000006040: 7E9003B2
	v_mov_b32_e32 v61, v178                                    // 000000006044: 7E7A03B2
	v_mov_b32_e32 v73, v178                                    // 000000006048: 7E9203B2
	v_mov_b32_e32 v62, v178                                    // 00000000604C: 7E7C03B2
	v_mov_b32_e32 v74, v178                                    // 000000006050: 7E9403B2
	v_mov_b32_e32 v63, v178                                    // 000000006054: 7E7E03B2
	v_mov_b32_e32 v75, v178                                    // 000000006058: 7E9603B2
	s_branch label_0821                                        // 00000000605C: BF820000

0000000000006060 <label_0821>:
	s_addk_i32 s74, 0x1                                        // 000000006060: B74A0001
	s_waitcnt lgkmcnt(8)                                       // 000000006064: BF8CC87F
	s_barrier                                                  // 000000006068: BF8A0000
	v_mfma_f32_16x16x16_bf16 v[76:79], v[108:109], a[72:73], 0 // 00000000606C: D3E1004C 1202916C
	ds_read_b128 a[96:99], v14 offset:4352                     // 000000006074: DBFE1100 6000000E
	ds_read_b128 a[100:103], v14 offset:4864                   // 00000000607C: DBFE1300 6400000E
	v_mfma_f32_16x16x16_bf16 v[76:79], v[110:111], a[74:75], v[76:79]// 000000006084: D3E1004C 1532956E
	v_fma_f32 v52, v52, s57, -v140                             // 00000000608C: D1CB0034 86307334
	v_fma_f32 v53, v53, s57, -v141                             // 000000006094: D1CB0035 86347335
	v_fma_f32 v54, v54, s57, -v142                             // 00000000609C: D1CB0036 86387336
	v_fma_f32 v55, v55, s57, -v143                             // 0000000060A4: D1CB0037 863C7337
	v_fma_f32 v56, v56, s57, -v140                             // 0000000060AC: D1CB0038 86307338
	v_fma_f32 v57, v57, s57, -v141                             // 0000000060B4: D1CB0039 86347339
	v_mfma_f32_16x16x16_bf16 v[76:79], v[112:113], a[76:77], v[76:79]// 0000000060BC: D3E1004C 15329970
	v_fma_f32 v58, v58, s57, -v142                             // 0000000060C4: D1CB003A 8638733A
	v_fma_f32 v59, v59, s57, -v143                             // 0000000060CC: D1CB003B 863C733B
	v_fma_f32 v60, v60, s57, -v140                             // 0000000060D4: D1CB003C 8630733C
	v_fma_f32 v61, v61, s57, -v141                             // 0000000060DC: D1CB003D 8634733D
	v_fma_f32 v62, v62, s57, -v142                             // 0000000060E4: D1CB003E 8638733E
	v_fma_f32 v63, v63, s57, -v143                             // 0000000060EC: D1CB003F 863C733F
	v_mfma_f32_16x16x16_bf16 v[76:79], v[114:115], a[78:79], v[76:79]// 0000000060F4: D3E1004C 15329D72
	v_fma_f32 v64, v64, s57, -v144                             // 0000000060FC: D1CB0040 86407340
	v_fma_f32 v65, v65, s57, -v145                             // 000000006104: D1CB0041 86447341
	v_fma_f32 v66, v66, s57, -v146                             // 00000000610C: D1CB0042 86487342
	v_fma_f32 v67, v67, s57, -v147                             // 000000006114: D1CB0043 864C7343
	v_fma_f32 v68, v68, s57, -v144                             // 00000000611C: D1CB0044 86407344
	v_fma_f32 v69, v69, s57, -v145                             // 000000006124: D1CB0045 86447345
	v_mfma_f32_16x16x16_bf16 v[80:83], v[108:109], a[80:81], 0 // 00000000612C: D3E10050 1202A16C
	ds_read_b128 a[104:107], v14 offset:6528                   // 000000006134: DBFE1980 6800000E
	ds_read_b128 a[108:111], v14 offset:7040                   // 00000000613C: DBFE1B80 6C00000E
	v_mfma_f32_16x16x16_bf16 v[80:83], v[110:111], a[82:83], v[80:83]// 000000006144: D3E10050 1542A56E
	v_fma_f32 v70, v70, s57, -v146                             // 00000000614C: D1CB0046 86487346
	v_fma_f32 v71, v71, s57, -v147                             // 000000006154: D1CB0047 864C7347
	v_fma_f32 v72, v72, s57, -v144                             // 00000000615C: D1CB0048 86407348
	v_fma_f32 v73, v73, s57, -v145                             // 000000006164: D1CB0049 86447349
	v_fma_f32 v74, v74, s57, -v146                             // 00000000616C: D1CB004A 8648734A
	v_fma_f32 v75, v75, s57, -v147                             // 000000006174: D1CB004B 864C734B
	v_mfma_f32_16x16x16_bf16 v[80:83], v[112:113], a[84:85], v[80:83]// 00000000617C: D3E10050 1542A970
	v_exp_f32_e32 v52, v52                                     // 000000006184: 7E684134
	v_exp_f32_e32 v53, v53                                     // 000000006188: 7E6A4135
	v_mfma_f32_16x16x16_bf16 v[80:83], v[114:115], a[86:87], v[80:83]// 00000000618C: D3E10050 1542AD72
	v_exp_f32_e32 v54, v54                                     // 000000006194: 7E6C4136
	v_exp_f32_e32 v55, v55                                     // 000000006198: 7E6E4137
	v_mfma_f32_16x16x16_bf16 v[84:87], v[108:109], a[88:89], 0 // 00000000619C: D3E10054 1202B16C
	ds_read_b64 v[156:157], v21 offset:31232                   // 0000000061A4: D8EC7A00 9C000015
	ds_read_b64 v[158:159], v21 offset:33280                   // 0000000061AC: D8EC8200 9E000015
	v_mfma_f32_16x16x16_bf16 v[84:87], v[110:111], a[90:91], v[84:87]// 0000000061B4: D3E10054 1552B56E
	v_exp_f32_e32 v56, v56                                     // 0000000061BC: 7E704138
	v_exp_f32_e32 v57, v57                                     // 0000000061C0: 7E724139
	v_mfma_f32_16x16x16_bf16 v[84:87], v[112:113], a[92:93], v[84:87]// 0000000061C4: D3E10054 1552B970
	ds_read_b64 v[160:161], v21 offset:35328                   // 0000000061CC: D8EC8A00 A0000015
	ds_read_b64 v[162:163], v21 offset:37376                   // 0000000061D4: D8EC9200 A2000015
	v_mfma_f32_16x16x16_bf16 v[84:87], v[114:115], a[94:95], v[84:87]// 0000000061DC: D3E10054 1552BD72
	v_exp_f32_e32 v58, v58                                     // 0000000061E4: 7E74413A
	v_exp_f32_e32 v59, v59                                     // 0000000061E8: 7E76413B
	v_mfma_f32_16x16x16_bf16 v[88:91], v[116:117], a[72:73], 0 // 0000000061EC: D3E10058 12029174
	v_exp_f32_e32 v60, v60                                     // 0000000061F4: 7E78413C
	v_exp_f32_e32 v61, v61                                     // 0000000061F8: 7E7A413D
	v_mfma_f32_16x16x16_bf16 v[88:91], v[118:119], a[74:75], v[88:91]// 0000000061FC: D3E10058 15629576
	v_exp_f32_e32 v62, v62                                     // 000000006204: 7E7C413E
	v_exp_f32_e32 v63, v63                                     // 000000006208: 7E7E413F
	v_mfma_f32_16x16x16_bf16 v[88:91], v[120:121], a[76:77], v[88:91]// 00000000620C: D3E10058 15629978
	v_exp_f32_e32 v64, v64                                     // 000000006214: 7E804140
	v_exp_f32_e32 v65, v65                                     // 000000006218: 7E824141
	v_mfma_f32_16x16x16_bf16 v[88:91], v[122:123], a[78:79], v[88:91]// 00000000621C: D3E10058 15629D7A
	v_exp_f32_e32 v66, v66                                     // 000000006224: 7E844142
	v_exp_f32_e32 v67, v67                                     // 000000006228: 7E864143
	v_mfma_f32_16x16x16_bf16 v[92:95], v[116:117], a[80:81], 0 // 00000000622C: D3E1005C 1202A174
	v_exp_f32_e32 v68, v68                                     // 000000006234: 7E884144
	v_exp_f32_e32 v69, v69                                     // 000000006238: 7E8A4145
	v_mfma_f32_16x16x16_bf16 v[92:95], v[118:119], a[82:83], v[92:95]// 00000000623C: D3E1005C 1572A576
	v_exp_f32_e32 v70, v70                                     // 000000006244: 7E8C4146
	v_exp_f32_e32 v71, v71                                     // 000000006248: 7E8E4147
	v_mfma_f32_16x16x16_bf16 v[92:95], v[120:121], a[84:85], v[92:95]// 00000000624C: D3E1005C 1572A978
	v_exp_f32_e32 v72, v72                                     // 000000006254: 7E904148
	v_exp_f32_e32 v73, v73                                     // 000000006258: 7E924149
	v_mfma_f32_16x16x16_bf16 v[92:95], v[122:123], a[86:87], v[92:95]// 00000000625C: D3E1005C 1572AD7A
	v_exp_f32_e32 v74, v74                                     // 000000006264: 7E94414A
	v_exp_f32_e32 v75, v75                                     // 000000006268: 7E96414B
	v_mfma_f32_16x16x16_bf16 v[96:99], v[116:117], a[88:89], 0 // 00000000626C: D3E10060 1202B174
	v_cmp_u_f32_e64 s[78:79], v52, v52                         // 000000006274: D048004E 00026934
	v_add3_u32 v228, v52, v231, 1                              // 00000000627C: D1FF00E4 0207CF34
	v_cndmask_b32_e64 v32, v228, v230, s[78:79]                // 000000006284: D1000020 013BCDE4
	v_cmp_u_f32_e64 s[78:79], v53, v53                         // 00000000628C: D048004E 00026B35
	v_add3_u32 v228, v53, v231, 1                              // 000000006294: D1FF00E4 0207CF35
	v_cndmask_b32_e64 v33, v228, v230, s[78:79]                // 00000000629C: D1000021 013BCDE4
	v_perm_b32 v164, v33, v32, s64                             // 0000000062A4: D1ED00A4 01024121
	v_cmp_u_f32_e64 s[78:79], v54, v54                         // 0000000062AC: D048004E 00026D36
	v_add3_u32 v228, v54, v231, 1                              // 0000000062B4: D1FF00E4 0207CF36
	v_cndmask_b32_e64 v32, v228, v230, s[78:79]                // 0000000062BC: D1000020 013BCDE4
	v_cmp_u_f32_e64 s[78:79], v55, v55                         // 0000000062C4: D048004E 00026F37
	v_add3_u32 v228, v55, v231, 1                              // 0000000062CC: D1FF00E4 0207CF37
	v_cndmask_b32_e64 v33, v228, v230, s[78:79]                // 0000000062D4: D1000021 013BCDE4
	v_perm_b32 v165, v33, v32, s64                             // 0000000062DC: D1ED00A5 01024121
	v_cmp_u_f32_e64 s[78:79], v56, v56                         // 0000000062E4: D048004E 00027138
	v_add3_u32 v228, v56, v231, 1                              // 0000000062EC: D1FF00E4 0207CF38
	v_cndmask_b32_e64 v32, v228, v230, s[78:79]                // 0000000062F4: D1000020 013BCDE4
	v_cmp_u_f32_e64 s[78:79], v57, v57                         // 0000000062FC: D048004E 00027339
	v_add3_u32 v228, v57, v231, 1                              // 000000006304: D1FF00E4 0207CF39
	v_cndmask_b32_e64 v33, v228, v230, s[78:79]                // 00000000630C: D1000021 013BCDE4
	v_perm_b32 v166, v33, v32, s64                             // 000000006314: D1ED00A6 01024121
	v_cmp_u_f32_e64 s[78:79], v58, v58                         // 00000000631C: D048004E 0002753A
	v_add3_u32 v228, v58, v231, 1                              // 000000006324: D1FF00E4 0207CF3A
	v_cndmask_b32_e64 v32, v228, v230, s[78:79]                // 00000000632C: D1000020 013BCDE4
	v_cmp_u_f32_e64 s[78:79], v59, v59                         // 000000006334: D048004E 0002773B
	v_add3_u32 v228, v59, v231, 1                              // 00000000633C: D1FF00E4 0207CF3B
	v_cndmask_b32_e64 v33, v228, v230, s[78:79]                // 000000006344: D1000021 013BCDE4
	v_perm_b32 v167, v33, v32, s64                             // 00000000634C: D1ED00A7 01024121
	v_cmp_u_f32_e64 s[78:79], v60, v60                         // 000000006354: D048004E 0002793C
	v_add3_u32 v228, v60, v231, 1                              // 00000000635C: D1FF00E4 0207CF3C
	v_cndmask_b32_e64 v32, v228, v230, s[78:79]                // 000000006364: D1000020 013BCDE4
	v_cmp_u_f32_e64 s[78:79], v61, v61                         // 00000000636C: D048004E 00027B3D
	v_add3_u32 v228, v61, v231, 1                              // 000000006374: D1FF00E4 0207CF3D
	v_cndmask_b32_e64 v33, v228, v230, s[78:79]                // 00000000637C: D1000021 013BCDE4
	v_perm_b32 v168, v33, v32, s64                             // 000000006384: D1ED00A8 01024121
	v_cmp_u_f32_e64 s[78:79], v62, v62                         // 00000000638C: D048004E 00027D3E
	v_add3_u32 v228, v62, v231, 1                              // 000000006394: D1FF00E4 0207CF3E
	v_cndmask_b32_e64 v32, v228, v230, s[78:79]                // 00000000639C: D1000020 013BCDE4
	v_cmp_u_f32_e64 s[78:79], v63, v63                         // 0000000063A4: D048004E 00027F3F
	v_add3_u32 v228, v63, v231, 1                              // 0000000063AC: D1FF00E4 0207CF3F
	v_cndmask_b32_e64 v33, v228, v230, s[78:79]                // 0000000063B4: D1000021 013BCDE4
	v_perm_b32 v169, v33, v32, s64                             // 0000000063BC: D1ED00A9 01024121
	v_mfma_f32_16x16x16_bf16 v[96:99], v[118:119], a[90:91], v[96:99]// 0000000063C4: D3E10060 1582B576
	v_cmp_u_f32_e64 s[78:79], v64, v64                         // 0000000063CC: D048004E 00028140
	v_add3_u32 v228, v64, v231, 1                              // 0000000063D4: D1FF00E4 0207CF40
	v_cndmask_b32_e64 v32, v228, v230, s[78:79]                // 0000000063DC: D1000020 013BCDE4
	v_cmp_u_f32_e64 s[78:79], v65, v65                         // 0000000063E4: D048004E 00028341
	v_add3_u32 v228, v65, v231, 1                              // 0000000063EC: D1FF00E4 0207CF41
	v_cndmask_b32_e64 v33, v228, v230, s[78:79]                // 0000000063F4: D1000021 013BCDE4
	v_perm_b32 v170, v33, v32, s64                             // 0000000063FC: D1ED00AA 01024121
	v_cmp_u_f32_e64 s[78:79], v66, v66                         // 000000006404: D048004E 00028542
	v_add3_u32 v228, v66, v231, 1                              // 00000000640C: D1FF00E4 0207CF42
	v_cndmask_b32_e64 v32, v228, v230, s[78:79]                // 000000006414: D1000020 013BCDE4
	v_cmp_u_f32_e64 s[78:79], v67, v67                         // 00000000641C: D048004E 00028743
	v_add3_u32 v228, v67, v231, 1                              // 000000006424: D1FF00E4 0207CF43
	v_cndmask_b32_e64 v33, v228, v230, s[78:79]                // 00000000642C: D1000021 013BCDE4
	v_perm_b32 v171, v33, v32, s64                             // 000000006434: D1ED00AB 01024121
	v_cmp_u_f32_e64 s[78:79], v68, v68                         // 00000000643C: D048004E 00028944
	v_add3_u32 v228, v68, v231, 1                              // 000000006444: D1FF00E4 0207CF44
	v_cndmask_b32_e64 v32, v228, v230, s[78:79]                // 00000000644C: D1000020 013BCDE4
	v_cmp_u_f32_e64 s[78:79], v69, v69                         // 000000006454: D048004E 00028B45
	v_add3_u32 v228, v69, v231, 1                              // 00000000645C: D1FF00E4 0207CF45
	v_cndmask_b32_e64 v33, v228, v230, s[78:79]                // 000000006464: D1000021 013BCDE4
	v_perm_b32 v172, v33, v32, s64                             // 00000000646C: D1ED00AC 01024121
	v_cmp_u_f32_e64 s[78:79], v70, v70                         // 000000006474: D048004E 00028D46
	v_add3_u32 v228, v70, v231, 1                              // 00000000647C: D1FF00E4 0207CF46
	v_cndmask_b32_e64 v32, v228, v230, s[78:79]                // 000000006484: D1000020 013BCDE4
	v_cmp_u_f32_e64 s[78:79], v71, v71                         // 00000000648C: D048004E 00028F47
	v_add3_u32 v228, v71, v231, 1                              // 000000006494: D1FF00E4 0207CF47
	v_cndmask_b32_e64 v33, v228, v230, s[78:79]                // 00000000649C: D1000021 013BCDE4
	v_perm_b32 v173, v33, v32, s64                             // 0000000064A4: D1ED00AD 01024121
	v_cmp_u_f32_e64 s[78:79], v72, v72                         // 0000000064AC: D048004E 00029148
	v_add3_u32 v228, v72, v231, 1                              // 0000000064B4: D1FF00E4 0207CF48
	v_cndmask_b32_e64 v32, v228, v230, s[78:79]                // 0000000064BC: D1000020 013BCDE4
	v_cmp_u_f32_e64 s[78:79], v73, v73                         // 0000000064C4: D048004E 00029349
	v_add3_u32 v228, v73, v231, 1                              // 0000000064CC: D1FF00E4 0207CF49
	v_cndmask_b32_e64 v33, v228, v230, s[78:79]                // 0000000064D4: D1000021 013BCDE4
	v_perm_b32 v174, v33, v32, s64                             // 0000000064DC: D1ED00AE 01024121
	v_cmp_u_f32_e64 s[78:79], v74, v74                         // 0000000064E4: D048004E 0002954A
	v_add3_u32 v228, v74, v231, 1                              // 0000000064EC: D1FF00E4 0207CF4A
	v_cndmask_b32_e64 v32, v228, v230, s[78:79]                // 0000000064F4: D1000020 013BCDE4
	v_cmp_u_f32_e64 s[78:79], v75, v75                         // 0000000064FC: D048004E 0002974B
	v_add3_u32 v228, v75, v231, 1                              // 000000006504: D1FF00E4 0207CF4B
	v_cndmask_b32_e64 v33, v228, v230, s[78:79]                // 00000000650C: D1000021 013BCDE4
	v_perm_b32 v175, v33, v32, s64                             // 000000006514: D1ED00AF 01024121
	v_mfma_f32_16x16x16_bf16 v[96:99], v[120:121], a[92:93], v[96:99]// 00000000651C: D3E10060 1582B978
	v_add_u32_e32 v6, s66, v6                                  // 000000006524: 680C0C42
	v_add_u32_e32 v7, s66, v7                                  // 000000006528: 680E0E42
	v_add_u32_e32 v8, s66, v8                                  // 00000000652C: 68101042
	v_add_u32_e32 v9, s66, v9                                  // 000000006530: 68121242
	v_mfma_f32_16x16x16_bf16 v[96:99], v[122:123], a[94:95], v[96:99]// 000000006534: D3E10060 1582BD7A
	s_waitcnt lgkmcnt(0)                                       // 00000000653C: BF8CC07F
	s_barrier                                                  // 000000006540: BF8A0000
	v_mfma_f32_16x16x16_bf16 v[180:183], v[124:125], v[164:165], v[180:183]// 000000006544: D3E100B4 06D3497C
	v_subrev_f32_dpp v76, v176, v76 quad_perm:[0,0,0,0] row_mask:0xf bank_mask:0xf// 00000000654C: 069898FA FF0000B0
	v_subrev_f32_dpp v77, v176, v77 quad_perm:[1,1,1,1] row_mask:0xf bank_mask:0xf// 000000006554: 069A9AFA FF0055B0
	v_subrev_f32_dpp v78, v176, v78 quad_perm:[2,2,2,2] row_mask:0xf bank_mask:0xf// 00000000655C: 069C9CFA FF00AAB0
	v_subrev_f32_dpp v79, v176, v79 quad_perm:[3,3,3,3] row_mask:0xf bank_mask:0xf// 000000006564: 069E9EFA FF00FFB0
	v_subrev_f32_dpp v80, v176, v80 quad_perm:[0,0,0,0] row_mask:0xf bank_mask:0xf// 00000000656C: 06A0A0FA FF0000B0
	v_subrev_f32_dpp v81, v176, v81 quad_perm:[1,1,1,1] row_mask:0xf bank_mask:0xf// 000000006574: 06A2A2FA FF0055B0
	v_mfma_f32_16x16x16_bf16 v[184:187], v[126:127], v[164:165], v[184:187]// 00000000657C: D3E100B8 06E3497E
	v_subrev_f32_dpp v82, v176, v82 quad_perm:[2,2,2,2] row_mask:0xf bank_mask:0xf// 000000006584: 06A4A4FA FF00AAB0
	v_subrev_f32_dpp v83, v176, v83 quad_perm:[3,3,3,3] row_mask:0xf bank_mask:0xf// 00000000658C: 06A6A6FA FF00FFB0
	v_subrev_f32_dpp v84, v176, v84 quad_perm:[0,0,0,0] row_mask:0xf bank_mask:0xf// 000000006594: 06A8A8FA FF0000B0
	v_subrev_f32_dpp v85, v176, v85 quad_perm:[1,1,1,1] row_mask:0xf bank_mask:0xf// 00000000659C: 06AAAAFA FF0055B0
	v_subrev_f32_dpp v86, v176, v86 quad_perm:[2,2,2,2] row_mask:0xf bank_mask:0xf// 0000000065A4: 06ACACFA FF00AAB0
	v_subrev_f32_dpp v87, v176, v87 quad_perm:[3,3,3,3] row_mask:0xf bank_mask:0xf// 0000000065AC: 06AEAEFA FF00FFB0
	v_mfma_f32_16x16x16_bf16 v[188:191], v[128:129], v[164:165], v[188:191]// 0000000065B4: D3E100BC 06F34980
	v_mul_f32_e32 v76, v52, v76                                // 0000000065BC: 0A989934
	v_mul_f32_e32 v77, v53, v77                                // 0000000065C0: 0A9A9B35
	v_mul_f32_e32 v78, v54, v78                                // 0000000065C4: 0A9C9D36
	v_mul_f32_e32 v79, v55, v79                                // 0000000065C8: 0A9E9F37
	v_mul_f32_e32 v80, v56, v80                                // 0000000065CC: 0AA0A138
	v_mul_f32_e32 v81, v57, v81                                // 0000000065D0: 0AA2A339
	v_mfma_f32_16x16x16_bf16 v[192:195], v[130:131], v[164:165], v[192:195]// 0000000065D4: D3E100C0 07034982
	v_mul_f32_e32 v82, v58, v82                                // 0000000065DC: 0AA4A53A
	v_mul_f32_e32 v83, v59, v83                                // 0000000065E0: 0AA6A73B
	v_mul_f32_e32 v84, v60, v84                                // 0000000065E4: 0AA8A93C
	v_mul_f32_e32 v85, v61, v85                                // 0000000065E8: 0AAAAB3D
	v_mul_f32_e32 v86, v62, v86                                // 0000000065EC: 0AACAD3E
	v_mul_f32_e32 v87, v63, v87                                // 0000000065F0: 0AAEAF3F
	v_mfma_f32_16x16x16_bf16 v[196:199], v[124:125], v[166:167], v[196:199]// 0000000065F4: D3E100C4 07134D7C
	v_cmp_u_f32_e64 s[78:79], v76, v76                         // 0000000065FC: D048004E 0002994C
	v_add3_u32 v228, v76, v231, 1                              // 000000006604: D1FF00E4 0207CF4C
	v_cndmask_b32_e64 v32, v228, v230, s[78:79]                // 00000000660C: D1000020 013BCDE4
	v_cmp_u_f32_e64 s[78:79], v77, v77                         // 000000006614: D048004E 00029B4D
	v_add3_u32 v228, v77, v231, 1                              // 00000000661C: D1FF00E4 0207CF4D
	v_cndmask_b32_e64 v33, v228, v230, s[78:79]                // 000000006624: D1000021 013BCDE4
	v_perm_b32 v76, v33, v32, s64                              // 00000000662C: D1ED004C 01024121
	v_cmp_u_f32_e64 s[78:79], v78, v78                         // 000000006634: D048004E 00029D4E
	v_add3_u32 v228, v78, v231, 1                              // 00000000663C: D1FF00E4 0207CF4E
	v_cndmask_b32_e64 v32, v228, v230, s[78:79]                // 000000006644: D1000020 013BCDE4
	v_cmp_u_f32_e64 s[78:79], v79, v79                         // 00000000664C: D048004E 00029F4F
	v_add3_u32 v228, v79, v231, 1                              // 000000006654: D1FF00E4 0207CF4F
	v_cndmask_b32_e64 v33, v228, v230, s[78:79]                // 00000000665C: D1000021 013BCDE4
	v_perm_b32 v77, v33, v32, s64                              // 000000006664: D1ED004D 01024121
	v_cmp_u_f32_e64 s[78:79], v80, v80                         // 00000000666C: D048004E 0002A150
	v_add3_u32 v228, v80, v231, 1                              // 000000006674: D1FF00E4 0207CF50
	v_cndmask_b32_e64 v32, v228, v230, s[78:79]                // 00000000667C: D1000020 013BCDE4
	v_cmp_u_f32_e64 s[78:79], v81, v81                         // 000000006684: D048004E 0002A351
	v_add3_u32 v228, v81, v231, 1                              // 00000000668C: D1FF00E4 0207CF51
	v_cndmask_b32_e64 v33, v228, v230, s[78:79]                // 000000006694: D1000021 013BCDE4
	v_perm_b32 v78, v33, v32, s64                              // 00000000669C: D1ED004E 01024121
	v_cmp_u_f32_e64 s[78:79], v82, v82                         // 0000000066A4: D048004E 0002A552
	v_add3_u32 v228, v82, v231, 1                              // 0000000066AC: D1FF00E4 0207CF52
	v_cndmask_b32_e64 v32, v228, v230, s[78:79]                // 0000000066B4: D1000020 013BCDE4
	v_cmp_u_f32_e64 s[78:79], v83, v83                         // 0000000066BC: D048004E 0002A753
	v_add3_u32 v228, v83, v231, 1                              // 0000000066C4: D1FF00E4 0207CF53
	v_cndmask_b32_e64 v33, v228, v230, s[78:79]                // 0000000066CC: D1000021 013BCDE4
	v_perm_b32 v79, v33, v32, s64                              // 0000000066D4: D1ED004F 01024121
	v_cmp_u_f32_e64 s[78:79], v84, v84                         // 0000000066DC: D048004E 0002A954
	v_add3_u32 v228, v84, v231, 1                              // 0000000066E4: D1FF00E4 0207CF54
	v_cndmask_b32_e64 v32, v228, v230, s[78:79]                // 0000000066EC: D1000020 013BCDE4
	v_cmp_u_f32_e64 s[78:79], v85, v85                         // 0000000066F4: D048004E 0002AB55
	v_add3_u32 v228, v85, v231, 1                              // 0000000066FC: D1FF00E4 0207CF55
	v_cndmask_b32_e64 v33, v228, v230, s[78:79]                // 000000006704: D1000021 013BCDE4
	v_perm_b32 v80, v33, v32, s64                              // 00000000670C: D1ED0050 01024121
	v_cmp_u_f32_e64 s[78:79], v86, v86                         // 000000006714: D048004E 0002AD56
	v_add3_u32 v228, v86, v231, 1                              // 00000000671C: D1FF00E4 0207CF56
	v_cndmask_b32_e64 v32, v228, v230, s[78:79]                // 000000006724: D1000020 013BCDE4
	v_cmp_u_f32_e64 s[78:79], v87, v87                         // 00000000672C: D048004E 0002AF57
	v_add3_u32 v228, v87, v231, 1                              // 000000006734: D1FF00E4 0207CF57
	v_cndmask_b32_e64 v33, v228, v230, s[78:79]                // 00000000673C: D1000021 013BCDE4
	v_perm_b32 v81, v33, v32, s64                              // 000000006744: D1ED0051 01024121
	v_mfma_f32_16x16x16_bf16 v[200:203], v[126:127], v[166:167], v[200:203]// 00000000674C: D3E100C8 07234D7E
	v_mov_b32_dpp v18, v76 quad_perm:[1,0,3,2] row_mask:0xf bank_mask:0xf// 000000006754: 7E2402FA FF00B14C
	v_perm_b32 v52, v18, v76, v17                              // 00000000675C: D1ED0034 04469912
	v_mov_b32_dpp v18, v77 quad_perm:[1,0,3,2] row_mask:0xf bank_mask:0xf// 000000006764: 7E2402FA FF00B14D
	v_perm_b32 v53, v18, v77, v17                              // 00000000676C: D1ED0035 04469B12
	v_mov_b32_dpp v18, v78 quad_perm:[1,0,3,2] row_mask:0xf bank_mask:0xf// 000000006774: 7E2402FA FF00B14E
	v_perm_b32 v54, v18, v78, v17                              // 00000000677C: D1ED0036 04469D12
	v_mfma_f32_16x16x16_bf16 v[204:207], v[128:129], v[166:167], v[204:207]// 000000006784: D3E100CC 07334D80
	v_mov_b32_dpp v18, v79 quad_perm:[1,0,3,2] row_mask:0xf bank_mask:0xf// 00000000678C: 7E2402FA FF00B14F
	v_perm_b32 v55, v18, v79, v17                              // 000000006794: D1ED0037 04469F12
	v_mov_b32_dpp v18, v80 quad_perm:[1,0,3,2] row_mask:0xf bank_mask:0xf// 00000000679C: 7E2402FA FF00B150
	v_perm_b32 v56, v18, v80, v17                              // 0000000067A4: D1ED0038 0446A112
	v_mov_b32_dpp v18, v81 quad_perm:[1,0,3,2] row_mask:0xf bank_mask:0xf// 0000000067AC: 7E2402FA FF00B151
	v_perm_b32 v57, v18, v81, v17                              // 0000000067B4: D1ED0039 0446A312
	v_mfma_f32_16x16x16_bf16 v[208:211], v[130:131], v[166:167], v[208:211]// 0000000067BC: D3E100D0 07434D82
	ds_write_b32 v20, v52 offset:17408                         // 0000000067C4: D81A4400 00003414
	ds_write_b32 v20, v53 offset:17952                         // 0000000067CC: D81A4620 00003514
	v_mfma_f32_16x16x16_bf16 v[212:215], v[124:125], v[168:169], v[212:215]// 0000000067D4: D3E100D4 0753517C
	v_subrev_f32_dpp v88, v177, v88 quad_perm:[0,0,0,0] row_mask:0xf bank_mask:0xf// 0000000067DC: 06B0B0FA FF0000B1
	v_subrev_f32_dpp v89, v177, v89 quad_perm:[1,1,1,1] row_mask:0xf bank_mask:0xf// 0000000067E4: 06B2B2FA FF0055B1
	v_subrev_f32_dpp v90, v177, v90 quad_perm:[2,2,2,2] row_mask:0xf bank_mask:0xf// 0000000067EC: 06B4B4FA FF00AAB1
	v_subrev_f32_dpp v91, v177, v91 quad_perm:[3,3,3,3] row_mask:0xf bank_mask:0xf// 0000000067F4: 06B6B6FA FF00FFB1
	v_subrev_f32_dpp v92, v177, v92 quad_perm:[0,0,0,0] row_mask:0xf bank_mask:0xf// 0000000067FC: 06B8B8FA FF0000B1
	v_subrev_f32_dpp v93, v177, v93 quad_perm:[1,1,1,1] row_mask:0xf bank_mask:0xf// 000000006804: 06BABAFA FF0055B1
	v_mfma_f32_16x16x16_bf16 v[216:219], v[126:127], v[168:169], v[216:219]// 00000000680C: D3E100D8 0763517E
	ds_write_b32 v20, v54 offset:19712                         // 000000006814: D81A4D00 00003614
	ds_write_b32 v20, v55 offset:20256                         // 00000000681C: D81A4F20 00003714
	v_mfma_f32_16x16x16_bf16 v[220:223], v[128:129], v[168:169], v[220:223]// 000000006824: D3E100DC 07735180
	v_subrev_f32_dpp v94, v177, v94 quad_perm:[2,2,2,2] row_mask:0xf bank_mask:0xf// 00000000682C: 06BCBCFA FF00AAB1
	v_subrev_f32_dpp v95, v177, v95 quad_perm:[3,3,3,3] row_mask:0xf bank_mask:0xf// 000000006834: 06BEBEFA FF00FFB1
	v_subrev_f32_dpp v96, v177, v96 quad_perm:[0,0,0,0] row_mask:0xf bank_mask:0xf// 00000000683C: 06C0C0FA FF0000B1
	v_subrev_f32_dpp v97, v177, v97 quad_perm:[1,1,1,1] row_mask:0xf bank_mask:0xf// 000000006844: 06C2C2FA FF0055B1
	v_subrev_f32_dpp v98, v177, v98 quad_perm:[2,2,2,2] row_mask:0xf bank_mask:0xf// 00000000684C: 06C4C4FA FF00AAB1
	v_subrev_f32_dpp v99, v177, v99 quad_perm:[3,3,3,3] row_mask:0xf bank_mask:0xf// 000000006854: 06C6C6FA FF00FFB1
	v_mfma_f32_16x16x16_bf16 v[224:227], v[130:131], v[168:169], v[224:227]// 00000000685C: D3E100E0 07835182
	ds_write_b32 v20, v56 offset:22016                         // 000000006864: D81A5600 00003814
	ds_write_b32 v20, v57 offset:22560                         // 00000000686C: D81A5820 00003914
	v_mfma_f32_16x16x16_bf16 v[180:183], v[132:133], v[170:171], v[180:183]// 000000006874: D3E100B4 06D35584
	v_mul_f32_e32 v88, v64, v88                                // 00000000687C: 0AB0B140
	v_mul_f32_e32 v89, v65, v89                                // 000000006880: 0AB2B341
	v_mul_f32_e32 v90, v66, v90                                // 000000006884: 0AB4B542
	v_mul_f32_e32 v91, v67, v91                                // 000000006888: 0AB6B743
	v_mul_f32_e32 v92, v68, v92                                // 00000000688C: 0AB8B944
	v_mul_f32_e32 v93, v69, v93                                // 000000006890: 0ABABB45
	v_mfma_f32_16x16x16_bf16 v[184:187], v[134:135], v[170:171], v[184:187]// 000000006894: D3E100B8 06E35586
	v_mul_f32_e32 v94, v70, v94                                // 00000000689C: 0ABCBD46
	v_mul_f32_e32 v95, v71, v95                                // 0000000068A0: 0ABEBF47
	v_mul_f32_e32 v96, v72, v96                                // 0000000068A4: 0AC0C148
	v_mul_f32_e32 v97, v73, v97                                // 0000000068A8: 0AC2C349
	v_mul_f32_e32 v98, v74, v98                                // 0000000068AC: 0AC4C54A
	v_mul_f32_e32 v99, v75, v99                                // 0000000068B0: 0AC6C74B
	v_mfma_f32_16x16x16_bf16 v[188:191], v[136:137], v[170:171], v[188:191]// 0000000068B4: D3E100BC 06F35588
	v_cmp_u_f32_e64 s[78:79], v88, v88                         // 0000000068BC: D048004E 0002B158
	v_add3_u32 v228, v88, v231, 1                              // 0000000068C4: D1FF00E4 0207CF58
	v_cndmask_b32_e64 v32, v228, v230, s[78:79]                // 0000000068CC: D1000020 013BCDE4
	v_cmp_u_f32_e64 s[78:79], v89, v89                         // 0000000068D4: D048004E 0002B359
	v_add3_u32 v228, v89, v231, 1                              // 0000000068DC: D1FF00E4 0207CF59
	v_cndmask_b32_e64 v33, v228, v230, s[78:79]                // 0000000068E4: D1000021 013BCDE4
	v_perm_b32 v82, v33, v32, s64                              // 0000000068EC: D1ED0052 01024121
	v_cmp_u_f32_e64 s[78:79], v90, v90                         // 0000000068F4: D048004E 0002B55A
	v_add3_u32 v228, v90, v231, 1                              // 0000000068FC: D1FF00E4 0207CF5A
	v_cndmask_b32_e64 v32, v228, v230, s[78:79]                // 000000006904: D1000020 013BCDE4
	v_cmp_u_f32_e64 s[78:79], v91, v91                         // 00000000690C: D048004E 0002B75B
	v_add3_u32 v228, v91, v231, 1                              // 000000006914: D1FF00E4 0207CF5B
	v_cndmask_b32_e64 v33, v228, v230, s[78:79]                // 00000000691C: D1000021 013BCDE4
	v_perm_b32 v83, v33, v32, s64                              // 000000006924: D1ED0053 01024121
	v_cmp_u_f32_e64 s[78:79], v92, v92                         // 00000000692C: D048004E 0002B95C
	v_add3_u32 v228, v92, v231, 1                              // 000000006934: D1FF00E4 0207CF5C
	v_cndmask_b32_e64 v32, v228, v230, s[78:79]                // 00000000693C: D1000020 013BCDE4
	v_cmp_u_f32_e64 s[78:79], v93, v93                         // 000000006944: D048004E 0002BB5D
	v_add3_u32 v228, v93, v231, 1                              // 00000000694C: D1FF00E4 0207CF5D
	v_cndmask_b32_e64 v33, v228, v230, s[78:79]                // 000000006954: D1000021 013BCDE4
	v_perm_b32 v84, v33, v32, s64                              // 00000000695C: D1ED0054 01024121
	v_cmp_u_f32_e64 s[78:79], v94, v94                         // 000000006964: D048004E 0002BD5E
	v_add3_u32 v228, v94, v231, 1                              // 00000000696C: D1FF00E4 0207CF5E
	v_cndmask_b32_e64 v32, v228, v230, s[78:79]                // 000000006974: D1000020 013BCDE4
	v_cmp_u_f32_e64 s[78:79], v95, v95                         // 00000000697C: D048004E 0002BF5F
	v_add3_u32 v228, v95, v231, 1                              // 000000006984: D1FF00E4 0207CF5F
	v_cndmask_b32_e64 v33, v228, v230, s[78:79]                // 00000000698C: D1000021 013BCDE4
	v_perm_b32 v85, v33, v32, s64                              // 000000006994: D1ED0055 01024121
	v_cmp_u_f32_e64 s[78:79], v96, v96                         // 00000000699C: D048004E 0002C160
	v_add3_u32 v228, v96, v231, 1                              // 0000000069A4: D1FF00E4 0207CF60
	v_cndmask_b32_e64 v32, v228, v230, s[78:79]                // 0000000069AC: D1000020 013BCDE4
	v_cmp_u_f32_e64 s[78:79], v97, v97                         // 0000000069B4: D048004E 0002C361
	v_add3_u32 v228, v97, v231, 1                              // 0000000069BC: D1FF00E4 0207CF61
	v_cndmask_b32_e64 v33, v228, v230, s[78:79]                // 0000000069C4: D1000021 013BCDE4
	v_perm_b32 v86, v33, v32, s64                              // 0000000069CC: D1ED0056 01024121
	v_cmp_u_f32_e64 s[78:79], v98, v98                         // 0000000069D4: D048004E 0002C562
	v_add3_u32 v228, v98, v231, 1                              // 0000000069DC: D1FF00E4 0207CF62
	v_cndmask_b32_e64 v32, v228, v230, s[78:79]                // 0000000069E4: D1000020 013BCDE4
	v_cmp_u_f32_e64 s[78:79], v99, v99                         // 0000000069EC: D048004E 0002C763
	v_add3_u32 v228, v99, v231, 1                              // 0000000069F4: D1FF00E4 0207CF63
	v_cndmask_b32_e64 v33, v228, v230, s[78:79]                // 0000000069FC: D1000021 013BCDE4
	v_perm_b32 v87, v33, v32, s64                              // 000000006A04: D1ED0057 01024121
	v_mfma_f32_16x16x16_bf16 v[192:195], v[138:139], v[170:171], v[192:195]// 000000006A0C: D3E100C0 0703558A
	v_mov_b32_dpp v18, v82 quad_perm:[1,0,3,2] row_mask:0xf bank_mask:0xf// 000000006A14: 7E2402FA FF00B152
	v_perm_b32 v58, v18, v82, v17                              // 000000006A1C: D1ED003A 0446A512
	v_mov_b32_dpp v18, v83 quad_perm:[1,0,3,2] row_mask:0xf bank_mask:0xf// 000000006A24: 7E2402FA FF00B153
	v_perm_b32 v59, v18, v83, v17                              // 000000006A2C: D1ED003B 0446A712
	v_mov_b32_dpp v18, v84 quad_perm:[1,0,3,2] row_mask:0xf bank_mask:0xf// 000000006A34: 7E2402FA FF00B154
	v_perm_b32 v60, v18, v84, v17                              // 000000006A3C: D1ED003C 0446A912
	v_mfma_f32_16x16x16_bf16 v[196:199], v[132:133], v[172:173], v[196:199]// 000000006A44: D3E100C4 07135984
	v_mov_b32_dpp v18, v85 quad_perm:[1,0,3,2] row_mask:0xf bank_mask:0xf// 000000006A4C: 7E2402FA FF00B155
	v_perm_b32 v61, v18, v85, v17                              // 000000006A54: D1ED003D 0446AB12
	v_mov_b32_dpp v18, v86 quad_perm:[1,0,3,2] row_mask:0xf bank_mask:0xf// 000000006A5C: 7E2402FA FF00B156
	v_perm_b32 v62, v18, v86, v17                              // 000000006A64: D1ED003E 0446AD12
	v_mov_b32_dpp v18, v87 quad_perm:[1,0,3,2] row_mask:0xf bank_mask:0xf// 000000006A6C: 7E2402FA FF00B157
	v_perm_b32 v63, v18, v87, v17                              // 000000006A74: D1ED003F 0446AF12
	v_mfma_f32_16x16x16_bf16 v[200:203], v[134:135], v[172:173], v[200:203]// 000000006A7C: D3E100C8 07235986
	ds_write_b32 v20, v58 offset:24320                         // 000000006A84: D81A5F00 00003A14
	ds_write_b32 v20, v59 offset:24864                         // 000000006A8C: D81A6120 00003B14
	v_mfma_f32_16x16x16_bf16 v[204:207], v[136:137], v[172:173], v[204:207]// 000000006A94: D3E100CC 07335988
	v_mfma_f32_16x16x16_bf16 v[208:211], v[138:139], v[172:173], v[208:211]// 000000006A9C: D3E100D0 0743598A
	ds_write_b32 v20, v60 offset:26624                         // 000000006AA4: D81A6800 00003C14
	ds_write_b32 v20, v61 offset:27168                         // 000000006AAC: D81A6A20 00003D14
	ds_write_b32 v20, v62 offset:28928                         // 000000006AB4: D81A7100 00003E14
	ds_write_b32 v20, v63 offset:29472                         // 000000006ABC: D81A7320 00003F14
	v_mfma_f32_16x16x16_bf16 v[212:215], v[132:133], v[174:175], v[212:215]// 000000006AC4: D3E100D4 07535D84
	v_mfma_f32_16x16x16_bf16 v[216:219], v[134:135], v[174:175], v[216:219]// 000000006ACC: D3E100D8 07635D86
	ds_write_b32 v15, v100 offset:4352                         // 000000006AD4: D81A1100 0000640F
	ds_write_b32 v15, v101 offset:5408                         // 000000006ADC: D81A1520 0000650F
	v_mfma_f32_16x16x16_bf16 v[220:223], v[136:137], v[174:175], v[220:223]// 000000006AE4: D3E100DC 07735D88
	s_nop 0                                                    // 000000006AEC: BF800000
	s_nop 0                                                    // 000000006AF0: BF800000
	s_nop 0                                                    // 000000006AF4: BF800000
	v_mfma_f32_16x16x16_bf16 v[224:227], v[138:139], v[174:175], v[224:227]// 000000006AF8: D3E100E0 07835D8A
	ds_write_b32 v15, v102 offset:6528                         // 000000006B00: D81A1980 0000660F
	ds_write_b32 v15, v103 offset:7584                         // 000000006B08: D81A1DA0 0000670F
	s_barrier                                                  // 000000006B10: BF8A0000
	v_mfma_f32_16x16x16_bf16 a[112:115], a[96:97], v[76:77], a[112:115]// 000000006B14: D3E18070 0DC29960
	buffer_atomic_add_f32 v156, v6, s[32:35], 0 idxen          // 000000006B1C: E1342000 80089C06
	v_mfma_f32_16x16x16_bf16 a[116:119], a[98:99], v[76:77], a[116:119]// 000000006B24: D3E18074 0DD29962
	ds_read_b32 v140, v23 offset:39936                         // 000000006B2C: D86C9C00 8C000017
	ds_read_b32 v144, v23 offset:40000                         // 000000006B34: D86C9C40 90000017
	ds_read_b32 v176, v23 offset:40192                         // 000000006B3C: D86C9D00 B0000017
	ds_read_b32 v177, v23 offset:40256                         // 000000006B44: D86C9D40 B1000017
	v_mfma_f32_16x16x16_bf16 a[120:123], a[100:101], v[76:77], a[120:123]// 000000006B4C: D3E18078 0DE29964
	s_waitcnt lgkmcnt(8)                                       // 000000006B54: BF8CC87F
	s_barrier                                                  // 000000006B58: BF8A0000
	v_mfma_f32_16x16x16_bf16 a[124:127], a[102:103], v[76:77], a[124:127]// 000000006B5C: D3E1807C 0DF29966
	ds_read_b128 v[52:55], v19 offset:17408                    // 000000006B64: D9FE4400 34000013
	v_mfma_f32_16x16x16_bf16 a[128:131], a[96:97], v[78:79], a[128:131]// 000000006B6C: D3E18080 0E029D60
	v_mfma_f32_16x16x16_bf16 a[132:135], a[98:99], v[78:79], a[132:135]// 000000006B74: D3E18084 0E129D62
	ds_read_b128 v[56:59], v19 offset:18560                    // 000000006B7C: D9FE4880 38000013
	v_mfma_f32_16x16x16_bf16 a[136:139], a[100:101], v[78:79], a[136:139]// 000000006B84: D3E18088 0E229D64
	buffer_atomic_add_f32 v157, v7, s[32:35], 0 idxen          // 000000006B8C: E1342000 80089D07
	v_mfma_f32_16x16x16_bf16 a[140:143], a[102:103], v[78:79], a[140:143]// 000000006B94: D3E1808C 0E329D66
	ds_read_b128 v[60:63], v19 offset:19712                    // 000000006B9C: D9FE4D00 3C000013
	v_mfma_f32_16x16x16_bf16 a[144:147], a[96:97], v[80:81], a[144:147]// 000000006BA4: D3E18090 0E42A160
	v_mfma_f32_16x16x16_bf16 a[148:151], a[98:99], v[80:81], a[148:151]// 000000006BAC: D3E18094 0E52A162
	ds_read_b128 v[64:67], v19 offset:20864                    // 000000006BB4: D9FE5180 40000013
	v_mfma_f32_16x16x16_bf16 a[152:155], a[100:101], v[80:81], a[152:155]// 000000006BBC: D3E18098 0E62A164
	v_mfma_f32_16x16x16_bf16 a[156:159], a[102:103], v[80:81], a[156:159]// 000000006BC4: D3E1809C 0E72A166
	ds_read_b128 v[68:71], v19 offset:22016                    // 000000006BCC: D9FE5600 44000013
	v_mfma_f32_16x16x16_bf16 a[112:115], a[104:105], v[82:83], a[112:115]// 000000006BD4: D3E18070 0DC2A568
	buffer_atomic_add_f32 v158, v6, s[32:35], 0 idxen offset:128// 000000006BDC: E1342080 80089E06
	v_mfma_f32_16x16x16_bf16 a[116:119], a[106:107], v[82:83], a[116:119]// 000000006BE4: D3E18074 0DD2A56A
	ds_read_b128 v[72:75], v19 offset:23168                    // 000000006BEC: D9FE5A80 48000013
	v_mfma_f32_16x16x16_bf16 a[120:123], a[108:109], v[82:83], a[120:123]// 000000006BF4: D3E18078 0DE2A56C
	v_mfma_f32_16x16x16_bf16 a[124:127], a[110:111], v[82:83], a[124:127]// 000000006BFC: D3E1807C 0DF2A56E
	ds_write_b32 v15, v104 offset:13056                        // 000000006C04: D81A3300 0000680F
	v_mfma_f32_16x16x16_bf16 a[128:131], a[104:105], v[84:85], a[128:131]// 000000006C0C: D3E18080 0E02A968
	v_mfma_f32_16x16x16_bf16 a[132:135], a[106:107], v[84:85], a[132:135]// 000000006C14: D3E18084 0E12A96A
	ds_write_b32 v15, v105 offset:14112                        // 000000006C1C: D81A3720 0000690F
	v_mfma_f32_16x16x16_bf16 a[136:139], a[108:109], v[84:85], a[136:139]// 000000006C24: D3E18088 0E22A96C
	buffer_atomic_add_f32 v159, v7, s[32:35], 0 idxen offset:128// 000000006C2C: E1342080 80089F07
	v_mfma_f32_16x16x16_bf16 a[140:143], a[110:111], v[84:85], a[140:143]// 000000006C34: D3E1808C 0E32A96E
	ds_write_b32 v15, v106 offset:15232                        // 000000006C3C: D81A3B80 00006A0F
	v_mfma_f32_16x16x16_bf16 a[144:147], a[104:105], v[86:87], a[144:147]// 000000006C44: D3E18090 0E42AD68
	v_mfma_f32_16x16x16_bf16 a[148:151], a[106:107], v[86:87], a[148:151]// 000000006C4C: D3E18094 0E52AD6A
	ds_write_b32 v15, v107 offset:16288                        // 000000006C54: D81A3FA0 00006B0F
	v_mfma_f32_16x16x16_bf16 a[152:155], a[108:109], v[86:87], a[152:155]// 000000006C5C: D3E18098 0E62AD6C
	v_mfma_f32_16x16x16_bf16 a[156:159], a[110:111], v[86:87], a[156:159]// 000000006C64: D3E1809C 0E72AD6E
	s_waitcnt vmcnt(8) lgkmcnt(4)                              // 000000006C6C: BF8C0478
	s_barrier                                                  // 000000006C70: BF8A0000
	v_mfma_f32_16x16x16_bf16 v[148:151], v[52:53], a[24:25], 0 // 000000006C74: D3E10094 12023134
	v_mul_f32_e32 v140, s48, v140                              // 000000006C7C: 0B191830
	v_mul_f32_e32 v144, s48, v144                              // 000000006C80: 0B212030
	s_nop 0                                                    // 000000006C84: BF800000
	v_mfma_f32_16x16x16_bf16 v[148:151], v[54:55], a[28:29], v[148:151]// 000000006C88: D3E10094 16523936
	ds_read_b128 a[96:99], v12                                 // 000000006C90: DBFE0000 6000000C
	buffer_load_dword v40, v1, s[8:11], 0 idxen                // 000000006C98: E0502000 80022801
	v_mfma_f32_16x16x16_bf16 v[148:151], v[56:57], a[32:33], v[148:151]// 000000006CA0: D3E10094 16524138
	v_mfma_f32_16x16x16_bf16 v[148:151], v[58:59], a[36:37], v[148:151]// 000000006CA8: D3E10094 1652493A
	ds_read_b128 a[100:103], v12 offset:512                    // 000000006CB0: DBFE0200 6400000C
	buffer_load_dword v41, v2, s[8:11], 0 idxen                // 000000006CB8: E0502000 80022902
	v_mfma_f32_16x16x16_bf16 v[148:151], v[60:61], a[40:41], v[148:151]// 000000006CC0: D3E10094 1652513C
	v_perm_b32 v100, v37, v36, s63                             // 000000006CC8: D1ED0064 00FE4925
	v_perm_b32 v101, v37, v36, s64                             // 000000006CD0: D1ED0065 01024925
	v_mfma_f32_16x16x16_bf16 v[148:151], v[62:63], a[44:45], v[148:151]// 000000006CD8: D3E10094 1652593E
	ds_read_b128 a[104:107], v12 offset:2176                   // 000000006CE0: DBFE0880 6800000C
	buffer_load_dword v42, v3, s[8:11], 0 idxen                // 000000006CE8: E0502000 80022A03
	v_mfma_f32_16x16x16_bf16 v[148:151], v[64:65], a[48:49], v[148:151]// 000000006CF0: D3E10094 16526140
	v_perm_b32 v102, v39, v38, s63                             // 000000006CF8: D1ED0066 00FE4D27
	v_perm_b32 v103, v39, v38, s64                             // 000000006D00: D1ED0067 01024D27
	v_mfma_f32_16x16x16_bf16 v[148:151], v[66:67], a[52:53], v[148:151]// 000000006D08: D3E10094 16526942
	ds_read_b128 a[108:111], v12 offset:2688                   // 000000006D10: DBFE0A80 6C00000C
	buffer_load_dword v43, v4, s[8:11], 0 idxen                // 000000006D18: E0502000 80022B04
	v_mfma_f32_16x16x16_bf16 v[148:151], v[68:69], a[56:57], v[148:151]// 000000006D20: D3E10094 16527144
	v_perm_b32 v104, v45, v44, s63                             // 000000006D28: D1ED0068 00FE592D
	v_perm_b32 v105, v45, v44, s64                             // 000000006D30: D1ED0069 0102592D
	v_mfma_f32_16x16x16_bf16 v[148:151], v[70:71], a[60:61], v[148:151]// 000000006D38: D3E10094 16527946
	ds_read_b128 v[108:111], v12 offset:8704                   // 000000006D40: D9FE2200 6C00000C
	buffer_load_dword v48, v232, s[20:23], 0 idxen             // 000000006D48: E0502000 800530E8
	v_mfma_f32_16x16x16_bf16 v[148:151], v[72:73], a[64:65], v[148:151]// 000000006D50: D3E10094 16528148
	v_perm_b32 v106, v47, v46, s63                             // 000000006D58: D1ED006A 00FE5D2F
	v_perm_b32 v107, v47, v46, s64                             // 000000006D60: D1ED006B 01025D2F
	v_mfma_f32_16x16x16_bf16 v[148:151], v[74:75], a[68:69], v[148:151]// 000000006D68: D3E10094 1652894A
	ds_read_b128 v[112:115], v12 offset:9216                   // 000000006D70: D9FE2400 7000000C
	buffer_load_dword v49, v233, s[20:23], 0 idxen             // 000000006D78: E0502000 800531E9
	v_mfma_f32_16x16x16_bf16 v[152:155], v[52:53], a[26:27], 0 // 000000006D80: D3E10098 12023534
	v_mov_b32_dpp v143, v140 quad_perm:[3,3,3,3] row_mask:0xf bank_mask:0xf// 000000006D88: 7F1E02FA FF00FF8C
	v_mov_b32_dpp v142, v140 quad_perm:[2,2,2,2] row_mask:0xf bank_mask:0xf// 000000006D90: 7F1C02FA FF00AA8C
	v_mov_b32_dpp v141, v140 quad_perm:[1,1,1,1] row_mask:0xf bank_mask:0xf// 000000006D98: 7F1A02FA FF00558C
	v_mov_b32_dpp v140, v140 quad_perm:[0,0,0,0] row_mask:0xf bank_mask:0xf// 000000006DA0: 7F1802FA FF00008C
	v_mfma_f32_16x16x16_bf16 v[152:155], v[54:55], a[30:31], v[152:155]// 000000006DA8: D3E10098 16623D36
	ds_read_b128 v[116:119], v12 offset:10880                  // 000000006DB0: D9FE2A80 7400000C
	buffer_load_dword v50, v234, s[20:23], 0 idxen             // 000000006DB8: E0502000 800532EA
	v_mfma_f32_16x16x16_bf16 v[152:155], v[56:57], a[34:35], v[152:155]// 000000006DC0: D3E10098 16624538
	v_mov_b32_dpp v147, v144 quad_perm:[3,3,3,3] row_mask:0xf bank_mask:0xf// 000000006DC8: 7F2602FA FF00FF90
	v_mov_b32_dpp v146, v144 quad_perm:[2,2,2,2] row_mask:0xf bank_mask:0xf// 000000006DD0: 7F2402FA FF00AA90
	v_mov_b32_dpp v145, v144 quad_perm:[1,1,1,1] row_mask:0xf bank_mask:0xf// 000000006DD8: 7F2202FA FF005590
	v_mov_b32_dpp v144, v144 quad_perm:[0,0,0,0] row_mask:0xf bank_mask:0xf// 000000006DE0: 7F2002FA FF000090
	s_add_u32 s60, 0x80, s59                                   // 000000006DE8: 803C3BFF 00000080
	v_mfma_f32_16x16x16_bf16 v[152:155], v[58:59], a[38:39], v[152:155]// 000000006DF0: D3E10098 16624D3A
	ds_read_b128 v[120:123], v12 offset:11392                  // 000000006DF8: D9FE2C80 7800000C
	buffer_load_dword v51, v235, s[20:23], 0 idxen             // 000000006E00: E0502000 800533EB
	v_mfma_f32_16x16x16_bf16 v[152:155], v[60:61], a[42:43], v[152:155]// 000000006E08: D3E10098 1662553C
	s_cmp_lt_u32 s60, s58                                      // 000000006E10: BF0A3A3C
	s_cselect_b32 s68, s68, 0                                  // 000000006E14: 85448044
	s_cselect_b32 s100, s100, 0                                // 000000006E18: 85648064
	s_cselect_b32 s69, s69, 0                                  // 000000006E1C: 85458045
	v_mfma_f32_16x16x16_bf16 v[152:155], v[62:63], a[46:47], v[152:155]// 000000006E20: D3E10098 16625D3E
	buffer_load_dword v11, s[24:27], 0 idxen lds               // 000000006E28: E0512000 8006000B
	v_mfma_f32_16x16x16_bf16 v[152:155], v[64:65], a[50:51], v[152:155]// 000000006E30: D3E10098 16626540
	v_add_u32_e32 v1, s68, v1                                  // 000000006E38: 68020244
	v_add_u32_e32 v2, s68, v2                                  // 000000006E3C: 68040444
	v_add_u32_e32 v3, s68, v3                                  // 000000006E40: 68060644
	v_add_u32_e32 v4, s68, v4                                  // 000000006E44: 68080844
	v_mfma_f32_16x16x16_bf16 v[152:155], v[66:67], a[54:55], v[152:155]// 000000006E48: D3E10098 16626D42
	v_add_u32_e32 v232, s100, v232                             // 000000006E50: 69D1D064
	v_add_u32_e32 v233, s100, v233                             // 000000006E54: 69D3D264
	v_add_u32_e32 v234, s100, v234                             // 000000006E58: 69D5D464
	v_add_u32_e32 v235, s100, v235                             // 000000006E5C: 69D7D664
	v_mfma_f32_16x16x16_bf16 v[152:155], v[68:69], a[58:59], v[152:155]// 000000006E60: D3E10098 16627544
	s_mov_b32 m0, s80                                          // 000000006E68: BEFC0050
	v_add_u32_e32 v11, s69, v11                                // 000000006E6C: 68161645
	v_mfma_f32_16x16x16_bf16 v[152:155], v[70:71], a[62:63], v[152:155]// 000000006E70: D3E10098 16627D46
	s_cmp_ge_u32 s59, s73                                      // 000000006E78: BF09493B
	s_cselect_b32 s66, s67, s66                                // 000000006E7C: 85424243
	v_mfma_f32_16x16x16_bf16 v[152:155], v[72:73], a[66:67], v[152:155]// 000000006E80: D3E10098 16628548
	s_addk_i32 s59, 0x20                                       // 000000006E88: B73B0020
	s_nop 0                                                    // 000000006E8C: BF800000
	s_cmp_lt_i32 s59, s58                                      // 000000006E90: BF043A3B
	v_mfma_f32_16x16x16_bf16 v[152:155], v[74:75], a[70:71], v[152:155]// 000000006E94: D3E10098 16628D4A
	s_cbranch_scc0 label_1105                                  // 000000006E9C: BF84054B
	s_waitcnt lgkmcnt(4)                                       // 000000006EA0: BF8CC47F
	s_barrier                                                  // 000000006EA4: BF8A0000
	v_mfma_f32_16x16x16_bf16 v[52:55], a[96:97], a[0:1], 0     // 000000006EA8: D3E10034 1A020160
	ds_write_b32 v13, v44 offset:8704                          // 000000006EB0: D81A2200 00002C0D
	ds_write_b32 v13, v45 offset:9760                          // 000000006EB8: D81A2620 00002D0D
	v_mfma_f32_16x16x16_bf16 v[52:55], a[98:99], a[2:3], v[52:55]// 000000006EC0: D3E10034 1CD20562
	v_mul_f32_e32 v148, s47, v148                              // 000000006EC8: 0B29282F
	v_mul_f32_e32 v149, s47, v149                              // 000000006ECC: 0B2B2A2F
	v_mfma_f32_16x16x16_bf16 v[52:55], a[100:101], a[4:5], v[52:55]// 000000006ED0: D3E10034 1CD20964
	ds_write_b32 v13, v46 offset:10880                         // 000000006ED8: D81A2A80 00002E0D
	ds_write_b32 v13, v47 offset:11936                         // 000000006EE0: D81A2EA0 00002F0D
	v_mfma_f32_16x16x16_bf16 v[52:55], a[102:103], a[6:7], v[52:55]// 000000006EE8: D3E10034 1CD20D66
	v_mul_f32_e32 v150, s47, v150                              // 000000006EF0: 0B2D2C2F
	v_mul_f32_e32 v151, s47, v151                              // 000000006EF4: 0B2F2E2F
	v_mfma_f32_16x16x16_bf16 v[56:59], a[96:97], a[8:9], 0     // 000000006EF8: D3E10038 1A021160
	ds_write_b64 v22, v[148:149] offset:31232                  // 000000006F00: D89A7A00 00009416
	v_mfma_f32_16x16x16_bf16 v[56:59], a[98:99], a[10:11], v[56:59]// 000000006F08: D3E10038 1CE21562
	v_mul_f32_e32 v152, s47, v152                              // 000000006F10: 0B31302F
	v_mul_f32_e32 v153, s47, v153                              // 000000006F14: 0B33322F
	v_mfma_f32_16x16x16_bf16 v[56:59], a[100:101], a[12:13], v[56:59]// 000000006F18: D3E10038 1CE21964
	ds_write_b64 v22, v[150:151] offset:31744                  // 000000006F20: D89A7C00 00009616
	v_mfma_f32_16x16x16_bf16 v[56:59], a[102:103], a[14:15], v[56:59]// 000000006F28: D3E10038 1CE21D66
	v_mul_f32_e32 v154, s47, v154                              // 000000006F30: 0B35342F
	v_mul_f32_e32 v155, s47, v155                              // 000000006F34: 0B37362F
	v_mfma_f32_16x16x16_bf16 v[60:63], a[96:97], a[16:17], 0   // 000000006F38: D3E1003C 1A022160
	ds_write_b64 v22, v[152:153] offset:32256                  // 000000006F40: D89A7E00 00009816
	v_mfma_f32_16x16x16_bf16 v[60:63], a[98:99], a[18:19], v[60:63]// 000000006F48: D3E1003C 1CF22562
	buffer_atomic_add_f32 v160, v8, s[32:35], 0 idxen          // 000000006F50: E1342000 8008A008
	v_mfma_f32_16x16x16_bf16 v[60:63], a[100:101], a[20:21], v[60:63]// 000000006F58: D3E1003C 1CF22964
	ds_write_b64 v22, v[154:155] offset:32768                  // 000000006F60: D89A8000 00009A16
	v_mfma_f32_16x16x16_bf16 v[60:63], a[102:103], a[22:23], v[60:63]// 000000006F68: D3E1003C 1CF22D66
	v_mfma_f32_16x16x16_bf16 v[64:67], a[104:105], a[0:1], 0   // 000000006F70: D3E10040 1A020168
	ds_read_b128 v[124:127], v14 offset:13056                  // 000000006F78: D9FE3300 7C00000E
	ds_write_b32 v13, v36                                      // 000000006F80: D81A0000 0000240D
	v_mfma_f32_16x16x16_bf16 v[64:67], a[106:107], a[2:3], v[64:67]// 000000006F88: D3E10040 1D02056A
	buffer_atomic_add_f32 v161, v9, s[32:35], 0 idxen          // 000000006F90: E1342000 8008A109
	v_mfma_f32_16x16x16_bf16 v[64:67], a[108:109], a[4:5], v[64:67]// 000000006F98: D3E10040 1D02096C
	v_mfma_f32_16x16x16_bf16 v[64:67], a[110:111], a[6:7], v[64:67]// 000000006FA0: D3E10040 1D020D6E
	ds_read_b128 v[128:131], v14 offset:13568                  // 000000006FA8: D9FE3500 8000000E
	ds_write_b32 v13, v37 offset:1056                          // 000000006FB0: D81A0420 0000250D
	v_mfma_f32_16x16x16_bf16 v[68:71], a[104:105], a[8:9], 0   // 000000006FB8: D3E10044 1A021168
	buffer_atomic_add_f32 v162, v8, s[32:35], 0 idxen offset:128// 000000006FC0: E1342080 8008A208
	v_mfma_f32_16x16x16_bf16 v[68:71], a[106:107], a[10:11], v[68:71]// 000000006FC8: D3E10044 1D12156A
	v_mfma_f32_16x16x16_bf16 v[68:71], a[108:109], a[12:13], v[68:71]// 000000006FD0: D3E10044 1D12196C
	ds_read_b128 v[132:135], v14 offset:15232                  // 000000006FD8: D9FE3B80 8400000E
	ds_write_b32 v13, v38 offset:2176                          // 000000006FE0: D81A0880 0000260D
	v_mfma_f32_16x16x16_bf16 v[68:71], a[110:111], a[14:15], v[68:71]// 000000006FE8: D3E10044 1D121D6E
	v_mfma_f32_16x16x16_bf16 v[72:75], a[104:105], a[16:17], 0 // 000000006FF0: D3E10048 1A022168
	buffer_atomic_add_f32 v163, v9, s[32:35], 0 idxen offset:128// 000000006FF8: E1342080 8008A309
	v_mfma_f32_16x16x16_bf16 v[72:75], a[106:107], a[18:19], v[72:75]// 000000007000: D3E10048 1D22256A
	ds_read_b128 v[136:139], v14 offset:15744                  // 000000007008: D9FE3D80 8800000E
	ds_write_b32 v13, v39 offset:3232                          // 000000007010: D81A0CA0 0000270D
	v_mfma_f32_16x16x16_bf16 v[72:75], a[108:109], a[20:21], v[72:75]// 000000007018: D3E10048 1D22296C
	v_mfma_f32_16x16x16_bf16 v[72:75], a[110:111], a[22:23], v[72:75]// 000000007020: D3E10048 1D222D6E
	s_cmp_lt_i32 s74, 12                                       // 000000007028: BF048C4A
	s_cbranch_scc0 label_0CFB                                  // 00000000702C: BF8400E6
	s_mov_b32 s60, 0xffe0fffe                                  // 000000007030: BEBC00FF FFE0FFFE
	s_mov_b32 s61, 0xe000fe00                                  // 000000007038: BEBD00FF E000FE00
	s_nop 0                                                    // 000000007040: BF800000
	s_add_u32 s62, 0, s46                                      // 000000007044: 803E2E80
	s_cmp_lt_i32 s74, s62                                      // 000000007048: BF043E4A
	s_cbranch_scc1 label_0C45                                  // 00000000704C: BF850028
	s_cmp_eq_i32 s74, s62                                      // 000000007050: BF003E4A
	s_cbranch_scc1 label_0C2A                                  // 000000007054: BF85000B
	s_add_u32 s62, 4, s46                                      // 000000007058: 803E2E84
	s_cmp_lt_i32 s74, s62                                      // 00000000705C: BF043E4A
	s_cbranch_scc1 label_0C65                                  // 000000007060: BF850043
	s_cmp_eq_i32 s74, s62                                      // 000000007064: BF003E4A
	s_cbranch_scc1 label_0C4A                                  // 000000007068: BF850026
	s_add_u32 s62, 8, s46                                      // 00000000706C: 803E2E88
	s_cmp_lt_i32 s74, s62                                      // 000000007070: BF043E4A
	s_cbranch_scc1 label_0C85                                  // 000000007074: BF85005E
	s_cmp_eq_i32 s74, s62                                      // 000000007078: BF003E4A
	s_cbranch_scc1 label_0C6A                                  // 00000000707C: BF850041
	s_branch label_0C8A                                        // 000000007080: BF820060

0000000000007084 <label_0C2A>:
	v_cndmask_b32_e64 v52, v52, v178, s[60:61]                 // 000000007084: D1000034 00F36534
	s_lshl_b32 s60, s60, 1                                     // 00000000708C: 8E3C813C
	s_lshl_b32 s61, s61, 1                                     // 000000007090: 8E3D813D
	s_and_b32 s60, 0xfffeffff, s60                             // 000000007094: 863C3CFF FFFEFFFF
	s_and_b32 s61, 0xfffeffff, s61                             // 00000000709C: 863D3DFF FFFEFFFF
	v_cndmask_b32_e64 v53, v53, v178, s[60:61]                 // 0000000070A4: D1000035 00F36535
	s_lshl_b32 s60, s60, 1                                     // 0000000070AC: 8E3C813C
	s_lshl_b32 s61, s61, 1                                     // 0000000070B0: 8E3D813D
	s_and_b32 s60, 0xfffeffff, s60                             // 0000000070B4: 863C3CFF FFFEFFFF
	s_and_b32 s61, 0xfffeffff, s61                             // 0000000070BC: 863D3DFF FFFEFFFF
	v_cndmask_b32_e64 v54, v54, v178, s[60:61]                 // 0000000070C4: D1000036 00F36536
	s_lshl_b32 s60, s60, 1                                     // 0000000070CC: 8E3C813C
	s_lshl_b32 s61, s61, 1                                     // 0000000070D0: 8E3D813D
	s_and_b32 s60, 0xfffeffff, s60                             // 0000000070D4: 863C3CFF FFFEFFFF
	s_and_b32 s61, 0xfffeffff, s61                             // 0000000070DC: 863D3DFF FFFEFFFF
	v_cndmask_b32_e64 v55, v55, v178, s[60:61]                 // 0000000070E4: D1000037 00F36537
	s_branch label_0C65                                        // 0000000070EC: BF820020

00000000000070f0 <label_0C45>:
	v_mov_b32_e32 v52, v178                                    // 0000000070F0: 7E6803B2
	v_mov_b32_e32 v53, v178                                    // 0000000070F4: 7E6A03B2
	v_mov_b32_e32 v54, v178                                    // 0000000070F8: 7E6C03B2
	v_mov_b32_e32 v55, v178                                    // 0000000070FC: 7E6E03B2
	s_branch label_0C65                                        // 000000007100: BF82001B

0000000000007104 <label_0C4A>:
	v_cndmask_b32_e64 v56, v56, v178, s[60:61]                 // 000000007104: D1000038 00F36538
	s_lshl_b32 s60, s60, 1                                     // 00000000710C: 8E3C813C
	s_lshl_b32 s61, s61, 1                                     // 000000007110: 8E3D813D
	s_and_b32 s60, 0xfffeffff, s60                             // 000000007114: 863C3CFF FFFEFFFF
	s_and_b32 s61, 0xfffeffff, s61                             // 00000000711C: 863D3DFF FFFEFFFF
	v_cndmask_b32_e64 v57, v57, v178, s[60:61]                 // 000000007124: D1000039 00F36539
	s_lshl_b32 s60, s60, 1                                     // 00000000712C: 8E3C813C
	s_lshl_b32 s61, s61, 1                                     // 000000007130: 8E3D813D
	s_and_b32 s60, 0xfffeffff, s60                             // 000000007134: 863C3CFF FFFEFFFF
	s_and_b32 s61, 0xfffeffff, s61                             // 00000000713C: 863D3DFF FFFEFFFF
	v_cndmask_b32_e64 v58, v58, v178, s[60:61]                 // 000000007144: D100003A 00F3653A
	s_lshl_b32 s60, s60, 1                                     // 00000000714C: 8E3C813C
	s_lshl_b32 s61, s61, 1                                     // 000000007150: 8E3D813D
	s_and_b32 s60, 0xfffeffff, s60                             // 000000007154: 863C3CFF FFFEFFFF
	s_and_b32 s61, 0xfffeffff, s61                             // 00000000715C: 863D3DFF FFFEFFFF
	v_cndmask_b32_e64 v59, v59, v178, s[60:61]                 // 000000007164: D100003B 00F3653B
	s_branch label_0C85                                        // 00000000716C: BF820020

0000000000007170 <label_0C65>:
	v_mov_b32_e32 v56, v178                                    // 000000007170: 7E7003B2
	v_mov_b32_e32 v57, v178                                    // 000000007174: 7E7203B2
	v_mov_b32_e32 v58, v178                                    // 000000007178: 7E7403B2
	v_mov_b32_e32 v59, v178                                    // 00000000717C: 7E7603B2
	s_branch label_0C85                                        // 000000007180: BF82001B

0000000000007184 <label_0C6A>:
	v_cndmask_b32_e64 v60, v60, v178, s[60:61]                 // 000000007184: D100003C 00F3653C
	s_lshl_b32 s60, s60, 1                                     // 00000000718C: 8E3C813C
	s_lshl_b32 s61, s61, 1                                     // 000000007190: 8E3D813D
	s_and_b32 s60, 0xfffeffff, s60                             // 000000007194: 863C3CFF FFFEFFFF
	s_and_b32 s61, 0xfffeffff, s61                             // 00000000719C: 863D3DFF FFFEFFFF
	v_cndmask_b32_e64 v61, v61, v178, s[60:61]                 // 0000000071A4: D100003D 00F3653D
	s_lshl_b32 s60, s60, 1                                     // 0000000071AC: 8E3C813C
	s_lshl_b32 s61, s61, 1                                     // 0000000071B0: 8E3D813D
	s_and_b32 s60, 0xfffeffff, s60                             // 0000000071B4: 863C3CFF FFFEFFFF
	s_and_b32 s61, 0xfffeffff, s61                             // 0000000071BC: 863D3DFF FFFEFFFF
	v_cndmask_b32_e64 v62, v62, v178, s[60:61]                 // 0000000071C4: D100003E 00F3653E
	s_lshl_b32 s60, s60, 1                                     // 0000000071CC: 8E3C813C
	s_lshl_b32 s61, s61, 1                                     // 0000000071D0: 8E3D813D
	s_and_b32 s60, 0xfffeffff, s60                             // 0000000071D4: 863C3CFF FFFEFFFF
	s_and_b32 s61, 0xfffeffff, s61                             // 0000000071DC: 863D3DFF FFFEFFFF
	v_cndmask_b32_e64 v63, v63, v178, s[60:61]                 // 0000000071E4: D100003F 00F3653F
	s_branch label_0C8A                                        // 0000000071EC: BF820005

00000000000071f0 <label_0C85>:
	v_mov_b32_e32 v60, v178                                    // 0000000071F0: 7E7803B2
	v_mov_b32_e32 v61, v178                                    // 0000000071F4: 7E7A03B2
	v_mov_b32_e32 v62, v178                                    // 0000000071F8: 7E7C03B2
	v_mov_b32_e32 v63, v178                                    // 0000000071FC: 7E7E03B2
	s_branch label_0C8A                                        // 000000007200: BF820000

0000000000007204 <label_0C8A>:
	s_addk_i32 s74, 0x1                                        // 000000007204: B74A0001
	s_add_u32 s62, 0, s46                                      // 000000007208: 803E2E80
	s_cmp_lt_i32 s74, s62                                      // 00000000720C: BF043E4A
	s_cbranch_scc1 label_0CB6                                  // 000000007210: BF850028
	s_cmp_eq_i32 s74, s62                                      // 000000007214: BF003E4A
	s_cbranch_scc1 label_0C9B                                  // 000000007218: BF85000B
	s_add_u32 s62, 4, s46                                      // 00000000721C: 803E2E84
	s_cmp_lt_i32 s74, s62                                      // 000000007220: BF043E4A
	s_cbranch_scc1 label_0CD6                                  // 000000007224: BF850043
	s_cmp_eq_i32 s74, s62                                      // 000000007228: BF003E4A
	s_cbranch_scc1 label_0CBB                                  // 00000000722C: BF850026
	s_add_u32 s62, 8, s46                                      // 000000007230: 803E2E88
	s_cmp_lt_i32 s74, s62                                      // 000000007234: BF043E4A
	s_cbranch_scc1 label_0CF6                                  // 000000007238: BF85005E
	s_cmp_eq_i32 s74, s62                                      // 00000000723C: BF003E4A
	s_cbranch_scc1 label_0CDB                                  // 000000007240: BF850041
	s_branch label_0CFB                                        // 000000007244: BF820060

0000000000007248 <label_0C9B>:
	v_cndmask_b32_e64 v64, v64, v178, s[60:61]                 // 000000007248: D1000040 00F36540
	s_lshl_b32 s60, s60, 1                                     // 000000007250: 8E3C813C
	s_lshl_b32 s61, s61, 1                                     // 000000007254: 8E3D813D
	s_and_b32 s60, 0xfffeffff, s60                             // 000000007258: 863C3CFF FFFEFFFF
	s_and_b32 s61, 0xfffeffff, s61                             // 000000007260: 863D3DFF FFFEFFFF
	v_cndmask_b32_e64 v65, v65, v178, s[60:61]                 // 000000007268: D1000041 00F36541
	s_lshl_b32 s60, s60, 1                                     // 000000007270: 8E3C813C
	s_lshl_b32 s61, s61, 1                                     // 000000007274: 8E3D813D
	s_and_b32 s60, 0xfffeffff, s60                             // 000000007278: 863C3CFF FFFEFFFF
	s_and_b32 s61, 0xfffeffff, s61                             // 000000007280: 863D3DFF FFFEFFFF
	v_cndmask_b32_e64 v66, v66, v178, s[60:61]                 // 000000007288: D1000042 00F36542
	s_lshl_b32 s60, s60, 1                                     // 000000007290: 8E3C813C
	s_lshl_b32 s61, s61, 1                                     // 000000007294: 8E3D813D
	s_and_b32 s60, 0xfffeffff, s60                             // 000000007298: 863C3CFF FFFEFFFF
	s_and_b32 s61, 0xfffeffff, s61                             // 0000000072A0: 863D3DFF FFFEFFFF
	v_cndmask_b32_e64 v67, v67, v178, s[60:61]                 // 0000000072A8: D1000043 00F36543
	s_branch label_0CD6                                        // 0000000072B0: BF820020

00000000000072b4 <label_0CB6>:
	v_mov_b32_e32 v64, v178                                    // 0000000072B4: 7E8003B2
	v_mov_b32_e32 v65, v178                                    // 0000000072B8: 7E8203B2
	v_mov_b32_e32 v66, v178                                    // 0000000072BC: 7E8403B2
	v_mov_b32_e32 v67, v178                                    // 0000000072C0: 7E8603B2
	s_branch label_0CD6                                        // 0000000072C4: BF82001B

00000000000072c8 <label_0CBB>:
	v_cndmask_b32_e64 v68, v68, v178, s[60:61]                 // 0000000072C8: D1000044 00F36544
	s_lshl_b32 s60, s60, 1                                     // 0000000072D0: 8E3C813C
	s_lshl_b32 s61, s61, 1                                     // 0000000072D4: 8E3D813D
	s_and_b32 s60, 0xfffeffff, s60                             // 0000000072D8: 863C3CFF FFFEFFFF
	s_and_b32 s61, 0xfffeffff, s61                             // 0000000072E0: 863D3DFF FFFEFFFF
	v_cndmask_b32_e64 v69, v69, v178, s[60:61]                 // 0000000072E8: D1000045 00F36545
	s_lshl_b32 s60, s60, 1                                     // 0000000072F0: 8E3C813C
	s_lshl_b32 s61, s61, 1                                     // 0000000072F4: 8E3D813D
	s_and_b32 s60, 0xfffeffff, s60                             // 0000000072F8: 863C3CFF FFFEFFFF
	s_and_b32 s61, 0xfffeffff, s61                             // 000000007300: 863D3DFF FFFEFFFF
	v_cndmask_b32_e64 v70, v70, v178, s[60:61]                 // 000000007308: D1000046 00F36546
	s_lshl_b32 s60, s60, 1                                     // 000000007310: 8E3C813C
	s_lshl_b32 s61, s61, 1                                     // 000000007314: 8E3D813D
	s_and_b32 s60, 0xfffeffff, s60                             // 000000007318: 863C3CFF FFFEFFFF
	s_and_b32 s61, 0xfffeffff, s61                             // 000000007320: 863D3DFF FFFEFFFF
	v_cndmask_b32_e64 v71, v71, v178, s[60:61]                 // 000000007328: D1000047 00F36547
	s_branch label_0CF6                                        // 000000007330: BF820020

0000000000007334 <label_0CD6>:
	v_mov_b32_e32 v68, v178                                    // 000000007334: 7E8803B2
	v_mov_b32_e32 v69, v178                                    // 000000007338: 7E8A03B2
	v_mov_b32_e32 v70, v178                                    // 00000000733C: 7E8C03B2
	v_mov_b32_e32 v71, v178                                    // 000000007340: 7E8E03B2
	s_branch label_0CF6                                        // 000000007344: BF82001B

0000000000007348 <label_0CDB>:
	v_cndmask_b32_e64 v72, v72, v178, s[60:61]                 // 000000007348: D1000048 00F36548
	s_lshl_b32 s60, s60, 1                                     // 000000007350: 8E3C813C
	s_lshl_b32 s61, s61, 1                                     // 000000007354: 8E3D813D
	s_and_b32 s60, 0xfffeffff, s60                             // 000000007358: 863C3CFF FFFEFFFF
	s_and_b32 s61, 0xfffeffff, s61                             // 000000007360: 863D3DFF FFFEFFFF
	v_cndmask_b32_e64 v73, v73, v178, s[60:61]                 // 000000007368: D1000049 00F36549
	s_lshl_b32 s60, s60, 1                                     // 000000007370: 8E3C813C
	s_lshl_b32 s61, s61, 1                                     // 000000007374: 8E3D813D
	s_and_b32 s60, 0xfffeffff, s60                             // 000000007378: 863C3CFF FFFEFFFF
	s_and_b32 s61, 0xfffeffff, s61                             // 000000007380: 863D3DFF FFFEFFFF
	v_cndmask_b32_e64 v74, v74, v178, s[60:61]                 // 000000007388: D100004A 00F3654A
	s_lshl_b32 s60, s60, 1                                     // 000000007390: 8E3C813C
	s_lshl_b32 s61, s61, 1                                     // 000000007394: 8E3D813D
	s_and_b32 s60, 0xfffeffff, s60                             // 000000007398: 863C3CFF FFFEFFFF
	s_and_b32 s61, 0xfffeffff, s61                             // 0000000073A0: 863D3DFF FFFEFFFF
	v_cndmask_b32_e64 v75, v75, v178, s[60:61]                 // 0000000073A8: D100004B 00F3654B
	s_branch label_0CFB                                        // 0000000073B0: BF820005

00000000000073b4 <label_0CF6>:
	v_mov_b32_e32 v72, v178                                    // 0000000073B4: 7E9003B2
	v_mov_b32_e32 v73, v178                                    // 0000000073B8: 7E9203B2
	v_mov_b32_e32 v74, v178                                    // 0000000073BC: 7E9403B2
	v_mov_b32_e32 v75, v178                                    // 0000000073C0: 7E9603B2
	s_branch label_0CFB                                        // 0000000073C4: BF820000

00000000000073c8 <label_0CFB>:
	s_cmp_lt_i32 s84, 0xc0                                     // 0000000073C8: BF04FF54 000000C0
	s_cbranch_scc0 label_0D74                                  // 0000000073D0: BF84006D
	s_cmp_le_i32 s84, 64                                       // 0000000073D4: BF05C054
	s_cbranch_scc1 label_0D07                                  // 0000000073D8: BF850007
	s_cmp_le_i32 s84, 0x80                                     // 0000000073DC: BF05FF54 00000080
	s_cbranch_scc1 label_0D2B                                  // 0000000073E4: BF85001F
	s_cmp_lt_i32 s84, 0xc0                                     // 0000000073E8: BF04FF54 000000C0
	s_cbranch_scc1 label_0D4F                                  // 0000000073F0: BF850040
	s_branch label_0D74                                        // 0000000073F4: BF820064

00000000000073f8 <label_0D07>:
	s_mov_b32 s60, 0                                           // 0000000073F8: BEBC0080
	v_and_b32_e32 v32, 15, v0                                  // 0000000073FC: 2640008F
	v_add_u32_e64 v32, v32, s60                                // 000000007400: D1340020 00007920
	v_mul_i32_i24_e64 v33, s46, 16                             // 000000007408: D1060021 0001202E
	v_add_u32_e32 v32, v32, v33                                // 000000007410: 68404320
	v_cmp_lt_u32_e64 s[60:61], v32, s84                        // 000000007414: D0C9003C 0000A920
	s_nop 1                                                    // 00000000741C: BF800001
	v_cndmask_b32_e64 v52, v178, v52, s[60:61]                 // 000000007420: D1000034 00F269B2
	v_cndmask_b32_e64 v64, v178, v64, s[60:61]                 // 000000007428: D1000040 00F281B2
	v_cndmask_b32_e64 v53, v178, v53, s[60:61]                 // 000000007430: D1000035 00F26BB2
	v_cndmask_b32_e64 v65, v178, v65, s[60:61]                 // 000000007438: D1000041 00F283B2
	v_cndmask_b32_e64 v54, v178, v54, s[60:61]                 // 000000007440: D1000036 00F26DB2
	v_cndmask_b32_e64 v66, v178, v66, s[60:61]                 // 000000007448: D1000042 00F285B2
	v_cndmask_b32_e64 v55, v178, v55, s[60:61]                 // 000000007450: D1000037 00F26FB2
	v_cndmask_b32_e64 v67, v178, v67, s[60:61]                 // 000000007458: D1000043 00F287B2
	s_branch label_0D46                                        // 000000007460: BF82001B

0000000000007464 <label_0D2B>:
	s_mov_b32 s60, 64                                          // 000000007464: BEBC00C0
	v_and_b32_e32 v32, 15, v0                                  // 000000007468: 2640008F
	v_add_u32_e64 v32, v32, s60                                // 00000000746C: D1340020 00007920
	v_mul_i32_i24_e64 v33, s46, 16                             // 000000007474: D1060021 0001202E
	v_add_u32_e32 v32, v32, v33                                // 00000000747C: 68404320
	v_cmp_lt_u32_e64 s[60:61], v32, s84                        // 000000007480: D0C9003C 0000A920
	s_nop 1                                                    // 000000007488: BF800001
	v_cndmask_b32_e64 v56, v178, v56, s[60:61]                 // 00000000748C: D1000038 00F271B2
	v_cndmask_b32_e64 v68, v178, v68, s[60:61]                 // 000000007494: D1000044 00F289B2
	v_cndmask_b32_e64 v57, v178, v57, s[60:61]                 // 00000000749C: D1000039 00F273B2
	v_cndmask_b32_e64 v69, v178, v69, s[60:61]                 // 0000000074A4: D1000045 00F28BB2
	v_cndmask_b32_e64 v58, v178, v58, s[60:61]                 // 0000000074AC: D100003A 00F275B2
	v_cndmask_b32_e64 v70, v178, v70, s[60:61]                 // 0000000074B4: D1000046 00F28DB2
	v_cndmask_b32_e64 v59, v178, v59, s[60:61]                 // 0000000074BC: D100003B 00F277B2
	v_cndmask_b32_e64 v71, v178, v71, s[60:61]                 // 0000000074C4: D1000047 00F28FB2
	s_branch label_0D6B                                        // 0000000074CC: BF820025

00000000000074d0 <label_0D46>:
	v_mov_b32_e32 v56, v178                                    // 0000000074D0: 7E7003B2
	v_mov_b32_e32 v68, v178                                    // 0000000074D4: 7E8803B2
	v_mov_b32_e32 v57, v178                                    // 0000000074D8: 7E7203B2
	v_mov_b32_e32 v69, v178                                    // 0000000074DC: 7E8A03B2
	v_mov_b32_e32 v58, v178                                    // 0000000074E0: 7E7403B2
	v_mov_b32_e32 v70, v178                                    // 0000000074E4: 7E8C03B2
	v_mov_b32_e32 v59, v178                                    // 0000000074E8: 7E7603B2
	v_mov_b32_e32 v71, v178                                    // 0000000074EC: 7E8E03B2
	s_branch label_0D6B                                        // 0000000074F0: BF82001C

00000000000074f4 <label_0D4F>:
	s_mov_b32 s60, 0x80                                        // 0000000074F4: BEBC00FF 00000080
	v_and_b32_e32 v32, 15, v0                                  // 0000000074FC: 2640008F
	v_add_u32_e64 v32, v32, s60                                // 000000007500: D1340020 00007920
	v_mul_i32_i24_e64 v33, s46, 16                             // 000000007508: D1060021 0001202E
	v_add_u32_e32 v32, v32, v33                                // 000000007510: 68404320
	v_cmp_lt_u32_e64 s[60:61], v32, s84                        // 000000007514: D0C9003C 0000A920
	s_nop 1                                                    // 00000000751C: BF800001
	v_cndmask_b32_e64 v60, v178, v60, s[60:61]                 // 000000007520: D100003C 00F279B2
	v_cndmask_b32_e64 v72, v178, v72, s[60:61]                 // 000000007528: D1000048 00F291B2
	v_cndmask_b32_e64 v61, v178, v61, s[60:61]                 // 000000007530: D100003D 00F27BB2
	v_cndmask_b32_e64 v73, v178, v73, s[60:61]                 // 000000007538: D1000049 00F293B2
	v_cndmask_b32_e64 v62, v178, v62, s[60:61]                 // 000000007540: D100003E 00F27DB2
	v_cndmask_b32_e64 v74, v178, v74, s[60:61]                 // 000000007548: D100004A 00F295B2
	v_cndmask_b32_e64 v63, v178, v63, s[60:61]                 // 000000007550: D100003F 00F27FB2
	v_cndmask_b32_e64 v75, v178, v75, s[60:61]                 // 000000007558: D100004B 00F297B2
	s_branch label_0D74                                        // 000000007560: BF820009

0000000000007564 <label_0D6B>:
	v_mov_b32_e32 v60, v178                                    // 000000007564: 7E7803B2
	v_mov_b32_e32 v72, v178                                    // 000000007568: 7E9003B2
	v_mov_b32_e32 v61, v178                                    // 00000000756C: 7E7A03B2
	v_mov_b32_e32 v73, v178                                    // 000000007570: 7E9203B2
	v_mov_b32_e32 v62, v178                                    // 000000007574: 7E7C03B2
	v_mov_b32_e32 v74, v178                                    // 000000007578: 7E9403B2
	v_mov_b32_e32 v63, v178                                    // 00000000757C: 7E7E03B2
	v_mov_b32_e32 v75, v178                                    // 000000007580: 7E9603B2
	s_branch label_0D74                                        // 000000007584: BF820000

0000000000007588 <label_0D74>:
	s_addk_i32 s74, 0x1                                        // 000000007588: B74A0001
	s_waitcnt lgkmcnt(8)                                       // 00000000758C: BF8CC87F
	s_barrier                                                  // 000000007590: BF8A0000
	v_mfma_f32_16x16x16_bf16 v[76:79], v[108:109], a[72:73], 0 // 000000007594: D3E1004C 1202916C
	ds_read_b128 a[96:99], v14 offset:4352                     // 00000000759C: DBFE1100 6000000E
	ds_read_b128 a[100:103], v14 offset:4864                   // 0000000075A4: DBFE1300 6400000E
	v_mfma_f32_16x16x16_bf16 v[76:79], v[110:111], a[74:75], v[76:79]// 0000000075AC: D3E1004C 1532956E
	v_fma_f32 v52, v52, s57, -v140                             // 0000000075B4: D1CB0034 86307334
	v_fma_f32 v53, v53, s57, -v141                             // 0000000075BC: D1CB0035 86347335
	v_fma_f32 v54, v54, s57, -v142                             // 0000000075C4: D1CB0036 86387336
	v_fma_f32 v55, v55, s57, -v143                             // 0000000075CC: D1CB0037 863C7337
	v_fma_f32 v56, v56, s57, -v140                             // 0000000075D4: D1CB0038 86307338
	v_fma_f32 v57, v57, s57, -v141                             // 0000000075DC: D1CB0039 86347339
	v_mfma_f32_16x16x16_bf16 v[76:79], v[112:113], a[76:77], v[76:79]// 0000000075E4: D3E1004C 15329970
	v_fma_f32 v58, v58, s57, -v142                             // 0000000075EC: D1CB003A 8638733A
	v_fma_f32 v59, v59, s57, -v143                             // 0000000075F4: D1CB003B 863C733B
	v_fma_f32 v60, v60, s57, -v140                             // 0000000075FC: D1CB003C 8630733C
	v_fma_f32 v61, v61, s57, -v141                             // 000000007604: D1CB003D 8634733D
	v_fma_f32 v62, v62, s57, -v142                             // 00000000760C: D1CB003E 8638733E
	v_fma_f32 v63, v63, s57, -v143                             // 000000007614: D1CB003F 863C733F
	v_mfma_f32_16x16x16_bf16 v[76:79], v[114:115], a[78:79], v[76:79]// 00000000761C: D3E1004C 15329D72
	v_fma_f32 v64, v64, s57, -v144                             // 000000007624: D1CB0040 86407340
	v_fma_f32 v65, v65, s57, -v145                             // 00000000762C: D1CB0041 86447341
	v_fma_f32 v66, v66, s57, -v146                             // 000000007634: D1CB0042 86487342
	v_fma_f32 v67, v67, s57, -v147                             // 00000000763C: D1CB0043 864C7343
	v_fma_f32 v68, v68, s57, -v144                             // 000000007644: D1CB0044 86407344
	v_fma_f32 v69, v69, s57, -v145                             // 00000000764C: D1CB0045 86447345
	v_mfma_f32_16x16x16_bf16 v[80:83], v[108:109], a[80:81], 0 // 000000007654: D3E10050 1202A16C
	ds_read_b128 a[104:107], v14 offset:6528                   // 00000000765C: DBFE1980 6800000E
	ds_read_b128 a[108:111], v14 offset:7040                   // 000000007664: DBFE1B80 6C00000E
	v_mfma_f32_16x16x16_bf16 v[80:83], v[110:111], a[82:83], v[80:83]// 00000000766C: D3E10050 1542A56E
	v_fma_f32 v70, v70, s57, -v146                             // 000000007674: D1CB0046 86487346
	v_fma_f32 v71, v71, s57, -v147                             // 00000000767C: D1CB0047 864C7347
	v_fma_f32 v72, v72, s57, -v144                             // 000000007684: D1CB0048 86407348
	v_fma_f32 v73, v73, s57, -v145                             // 00000000768C: D1CB0049 86447349
	v_fma_f32 v74, v74, s57, -v146                             // 000000007694: D1CB004A 8648734A
	v_fma_f32 v75, v75, s57, -v147                             // 00000000769C: D1CB004B 864C734B
	v_mfma_f32_16x16x16_bf16 v[80:83], v[112:113], a[84:85], v[80:83]// 0000000076A4: D3E10050 1542A970
	v_exp_f32_e32 v52, v52                                     // 0000000076AC: 7E684134
	v_exp_f32_e32 v53, v53                                     // 0000000076B0: 7E6A4135
	v_mfma_f32_16x16x16_bf16 v[80:83], v[114:115], a[86:87], v[80:83]// 0000000076B4: D3E10050 1542AD72
	v_exp_f32_e32 v54, v54                                     // 0000000076BC: 7E6C4136
	v_exp_f32_e32 v55, v55                                     // 0000000076C0: 7E6E4137
	v_mfma_f32_16x16x16_bf16 v[84:87], v[108:109], a[88:89], 0 // 0000000076C4: D3E10054 1202B16C
	ds_read_b64 v[156:157], v21 offset:31232                   // 0000000076CC: D8EC7A00 9C000015
	ds_read_b64 v[158:159], v21 offset:33280                   // 0000000076D4: D8EC8200 9E000015
	v_mfma_f32_16x16x16_bf16 v[84:87], v[110:111], a[90:91], v[84:87]// 0000000076DC: D3E10054 1552B56E
	v_exp_f32_e32 v56, v56                                     // 0000000076E4: 7E704138
	v_exp_f32_e32 v57, v57                                     // 0000000076E8: 7E724139
	v_mfma_f32_16x16x16_bf16 v[84:87], v[112:113], a[92:93], v[84:87]// 0000000076EC: D3E10054 1552B970
	ds_read_b64 v[160:161], v21 offset:35328                   // 0000000076F4: D8EC8A00 A0000015
	ds_read_b64 v[162:163], v21 offset:37376                   // 0000000076FC: D8EC9200 A2000015
	v_mfma_f32_16x16x16_bf16 v[84:87], v[114:115], a[94:95], v[84:87]// 000000007704: D3E10054 1552BD72
	v_exp_f32_e32 v58, v58                                     // 00000000770C: 7E74413A
	v_exp_f32_e32 v59, v59                                     // 000000007710: 7E76413B
	v_mfma_f32_16x16x16_bf16 v[88:91], v[116:117], a[72:73], 0 // 000000007714: D3E10058 12029174
	v_exp_f32_e32 v60, v60                                     // 00000000771C: 7E78413C
	v_exp_f32_e32 v61, v61                                     // 000000007720: 7E7A413D
	v_mfma_f32_16x16x16_bf16 v[88:91], v[118:119], a[74:75], v[88:91]// 000000007724: D3E10058 15629576
	v_exp_f32_e32 v62, v62                                     // 00000000772C: 7E7C413E
	v_exp_f32_e32 v63, v63                                     // 000000007730: 7E7E413F
	v_mfma_f32_16x16x16_bf16 v[88:91], v[120:121], a[76:77], v[88:91]// 000000007734: D3E10058 15629978
	v_exp_f32_e32 v64, v64                                     // 00000000773C: 7E804140
	v_exp_f32_e32 v65, v65                                     // 000000007740: 7E824141
	v_mfma_f32_16x16x16_bf16 v[88:91], v[122:123], a[78:79], v[88:91]// 000000007744: D3E10058 15629D7A
	v_exp_f32_e32 v66, v66                                     // 00000000774C: 7E844142
	v_exp_f32_e32 v67, v67                                     // 000000007750: 7E864143
	v_mfma_f32_16x16x16_bf16 v[92:95], v[116:117], a[80:81], 0 // 000000007754: D3E1005C 1202A174
	v_exp_f32_e32 v68, v68                                     // 00000000775C: 7E884144
	v_exp_f32_e32 v69, v69                                     // 000000007760: 7E8A4145
	v_mfma_f32_16x16x16_bf16 v[92:95], v[118:119], a[82:83], v[92:95]// 000000007764: D3E1005C 1572A576
	v_exp_f32_e32 v70, v70                                     // 00000000776C: 7E8C4146
	v_exp_f32_e32 v71, v71                                     // 000000007770: 7E8E4147
	v_mfma_f32_16x16x16_bf16 v[92:95], v[120:121], a[84:85], v[92:95]// 000000007774: D3E1005C 1572A978
	v_exp_f32_e32 v72, v72                                     // 00000000777C: 7E904148
	v_exp_f32_e32 v73, v73                                     // 000000007780: 7E924149
	v_mfma_f32_16x16x16_bf16 v[92:95], v[122:123], a[86:87], v[92:95]// 000000007784: D3E1005C 1572AD7A
	v_exp_f32_e32 v74, v74                                     // 00000000778C: 7E94414A
	v_exp_f32_e32 v75, v75                                     // 000000007790: 7E96414B
	v_mfma_f32_16x16x16_bf16 v[96:99], v[116:117], a[88:89], 0 // 000000007794: D3E10060 1202B174
	v_cmp_u_f32_e64 s[78:79], v52, v52                         // 00000000779C: D048004E 00026934
	v_add3_u32 v228, v52, v231, 1                              // 0000000077A4: D1FF00E4 0207CF34
	v_cndmask_b32_e64 v32, v228, v230, s[78:79]                // 0000000077AC: D1000020 013BCDE4
	v_cmp_u_f32_e64 s[78:79], v53, v53                         // 0000000077B4: D048004E 00026B35
	v_add3_u32 v228, v53, v231, 1                              // 0000000077BC: D1FF00E4 0207CF35
	v_cndmask_b32_e64 v33, v228, v230, s[78:79]                // 0000000077C4: D1000021 013BCDE4
	v_perm_b32 v164, v33, v32, s64                             // 0000000077CC: D1ED00A4 01024121
	v_cmp_u_f32_e64 s[78:79], v54, v54                         // 0000000077D4: D048004E 00026D36
	v_add3_u32 v228, v54, v231, 1                              // 0000000077DC: D1FF00E4 0207CF36
	v_cndmask_b32_e64 v32, v228, v230, s[78:79]                // 0000000077E4: D1000020 013BCDE4
	v_cmp_u_f32_e64 s[78:79], v55, v55                         // 0000000077EC: D048004E 00026F37
	v_add3_u32 v228, v55, v231, 1                              // 0000000077F4: D1FF00E4 0207CF37
	v_cndmask_b32_e64 v33, v228, v230, s[78:79]                // 0000000077FC: D1000021 013BCDE4
	v_perm_b32 v165, v33, v32, s64                             // 000000007804: D1ED00A5 01024121
	v_cmp_u_f32_e64 s[78:79], v56, v56                         // 00000000780C: D048004E 00027138
	v_add3_u32 v228, v56, v231, 1                              // 000000007814: D1FF00E4 0207CF38
	v_cndmask_b32_e64 v32, v228, v230, s[78:79]                // 00000000781C: D1000020 013BCDE4
	v_cmp_u_f32_e64 s[78:79], v57, v57                         // 000000007824: D048004E 00027339
	v_add3_u32 v228, v57, v231, 1                              // 00000000782C: D1FF00E4 0207CF39
	v_cndmask_b32_e64 v33, v228, v230, s[78:79]                // 000000007834: D1000021 013BCDE4
	v_perm_b32 v166, v33, v32, s64                             // 00000000783C: D1ED00A6 01024121
	v_cmp_u_f32_e64 s[78:79], v58, v58                         // 000000007844: D048004E 0002753A
	v_add3_u32 v228, v58, v231, 1                              // 00000000784C: D1FF00E4 0207CF3A
	v_cndmask_b32_e64 v32, v228, v230, s[78:79]                // 000000007854: D1000020 013BCDE4
	v_cmp_u_f32_e64 s[78:79], v59, v59                         // 00000000785C: D048004E 0002773B
	v_add3_u32 v228, v59, v231, 1                              // 000000007864: D1FF00E4 0207CF3B
	v_cndmask_b32_e64 v33, v228, v230, s[78:79]                // 00000000786C: D1000021 013BCDE4
	v_perm_b32 v167, v33, v32, s64                             // 000000007874: D1ED00A7 01024121
	v_cmp_u_f32_e64 s[78:79], v60, v60                         // 00000000787C: D048004E 0002793C
	v_add3_u32 v228, v60, v231, 1                              // 000000007884: D1FF00E4 0207CF3C
	v_cndmask_b32_e64 v32, v228, v230, s[78:79]                // 00000000788C: D1000020 013BCDE4
	v_cmp_u_f32_e64 s[78:79], v61, v61                         // 000000007894: D048004E 00027B3D
	v_add3_u32 v228, v61, v231, 1                              // 00000000789C: D1FF00E4 0207CF3D
	v_cndmask_b32_e64 v33, v228, v230, s[78:79]                // 0000000078A4: D1000021 013BCDE4
	v_perm_b32 v168, v33, v32, s64                             // 0000000078AC: D1ED00A8 01024121
	v_cmp_u_f32_e64 s[78:79], v62, v62                         // 0000000078B4: D048004E 00027D3E
	v_add3_u32 v228, v62, v231, 1                              // 0000000078BC: D1FF00E4 0207CF3E
	v_cndmask_b32_e64 v32, v228, v230, s[78:79]                // 0000000078C4: D1000020 013BCDE4
	v_cmp_u_f32_e64 s[78:79], v63, v63                         // 0000000078CC: D048004E 00027F3F
	v_add3_u32 v228, v63, v231, 1                              // 0000000078D4: D1FF00E4 0207CF3F
	v_cndmask_b32_e64 v33, v228, v230, s[78:79]                // 0000000078DC: D1000021 013BCDE4
	v_perm_b32 v169, v33, v32, s64                             // 0000000078E4: D1ED00A9 01024121
	v_mfma_f32_16x16x16_bf16 v[96:99], v[118:119], a[90:91], v[96:99]// 0000000078EC: D3E10060 1582B576
	v_cmp_u_f32_e64 s[78:79], v64, v64                         // 0000000078F4: D048004E 00028140
	v_add3_u32 v228, v64, v231, 1                              // 0000000078FC: D1FF00E4 0207CF40
	v_cndmask_b32_e64 v32, v228, v230, s[78:79]                // 000000007904: D1000020 013BCDE4
	v_cmp_u_f32_e64 s[78:79], v65, v65                         // 00000000790C: D048004E 00028341
	v_add3_u32 v228, v65, v231, 1                              // 000000007914: D1FF00E4 0207CF41
	v_cndmask_b32_e64 v33, v228, v230, s[78:79]                // 00000000791C: D1000021 013BCDE4
	v_perm_b32 v170, v33, v32, s64                             // 000000007924: D1ED00AA 01024121
	v_cmp_u_f32_e64 s[78:79], v66, v66                         // 00000000792C: D048004E 00028542
	v_add3_u32 v228, v66, v231, 1                              // 000000007934: D1FF00E4 0207CF42
	v_cndmask_b32_e64 v32, v228, v230, s[78:79]                // 00000000793C: D1000020 013BCDE4
	v_cmp_u_f32_e64 s[78:79], v67, v67                         // 000000007944: D048004E 00028743
	v_add3_u32 v228, v67, v231, 1                              // 00000000794C: D1FF00E4 0207CF43
	v_cndmask_b32_e64 v33, v228, v230, s[78:79]                // 000000007954: D1000021 013BCDE4
	v_perm_b32 v171, v33, v32, s64                             // 00000000795C: D1ED00AB 01024121
	v_cmp_u_f32_e64 s[78:79], v68, v68                         // 000000007964: D048004E 00028944
	v_add3_u32 v228, v68, v231, 1                              // 00000000796C: D1FF00E4 0207CF44
	v_cndmask_b32_e64 v32, v228, v230, s[78:79]                // 000000007974: D1000020 013BCDE4
	v_cmp_u_f32_e64 s[78:79], v69, v69                         // 00000000797C: D048004E 00028B45
	v_add3_u32 v228, v69, v231, 1                              // 000000007984: D1FF00E4 0207CF45
	v_cndmask_b32_e64 v33, v228, v230, s[78:79]                // 00000000798C: D1000021 013BCDE4
	v_perm_b32 v172, v33, v32, s64                             // 000000007994: D1ED00AC 01024121
	v_cmp_u_f32_e64 s[78:79], v70, v70                         // 00000000799C: D048004E 00028D46
	v_add3_u32 v228, v70, v231, 1                              // 0000000079A4: D1FF00E4 0207CF46
	v_cndmask_b32_e64 v32, v228, v230, s[78:79]                // 0000000079AC: D1000020 013BCDE4
	v_cmp_u_f32_e64 s[78:79], v71, v71                         // 0000000079B4: D048004E 00028F47
	v_add3_u32 v228, v71, v231, 1                              // 0000000079BC: D1FF00E4 0207CF47
	v_cndmask_b32_e64 v33, v228, v230, s[78:79]                // 0000000079C4: D1000021 013BCDE4
	v_perm_b32 v173, v33, v32, s64                             // 0000000079CC: D1ED00AD 01024121
	v_cmp_u_f32_e64 s[78:79], v72, v72                         // 0000000079D4: D048004E 00029148
	v_add3_u32 v228, v72, v231, 1                              // 0000000079DC: D1FF00E4 0207CF48
	v_cndmask_b32_e64 v32, v228, v230, s[78:79]                // 0000000079E4: D1000020 013BCDE4
	v_cmp_u_f32_e64 s[78:79], v73, v73                         // 0000000079EC: D048004E 00029349
	v_add3_u32 v228, v73, v231, 1                              // 0000000079F4: D1FF00E4 0207CF49
	v_cndmask_b32_e64 v33, v228, v230, s[78:79]                // 0000000079FC: D1000021 013BCDE4
	v_perm_b32 v174, v33, v32, s64                             // 000000007A04: D1ED00AE 01024121
	v_cmp_u_f32_e64 s[78:79], v74, v74                         // 000000007A0C: D048004E 0002954A
	v_add3_u32 v228, v74, v231, 1                              // 000000007A14: D1FF00E4 0207CF4A
	v_cndmask_b32_e64 v32, v228, v230, s[78:79]                // 000000007A1C: D1000020 013BCDE4
	v_cmp_u_f32_e64 s[78:79], v75, v75                         // 000000007A24: D048004E 0002974B
	v_add3_u32 v228, v75, v231, 1                              // 000000007A2C: D1FF00E4 0207CF4B
	v_cndmask_b32_e64 v33, v228, v230, s[78:79]                // 000000007A34: D1000021 013BCDE4
	v_perm_b32 v175, v33, v32, s64                             // 000000007A3C: D1ED00AF 01024121
	v_mfma_f32_16x16x16_bf16 v[96:99], v[120:121], a[92:93], v[96:99]// 000000007A44: D3E10060 1582B978
	v_add_u32_e32 v6, s66, v6                                  // 000000007A4C: 680C0C42
	v_add_u32_e32 v7, s66, v7                                  // 000000007A50: 680E0E42
	v_add_u32_e32 v8, s66, v8                                  // 000000007A54: 68101042
	v_add_u32_e32 v9, s66, v9                                  // 000000007A58: 68121242
	v_mfma_f32_16x16x16_bf16 v[96:99], v[122:123], a[94:95], v[96:99]// 000000007A5C: D3E10060 1582BD7A
	s_waitcnt lgkmcnt(0)                                       // 000000007A64: BF8CC07F
	s_barrier                                                  // 000000007A68: BF8A0000
	v_mfma_f32_16x16x16_bf16 v[180:183], v[124:125], v[164:165], v[180:183]// 000000007A6C: D3E100B4 06D3497C
	v_subrev_f32_dpp v76, v176, v76 quad_perm:[0,0,0,0] row_mask:0xf bank_mask:0xf// 000000007A74: 069898FA FF0000B0
	v_subrev_f32_dpp v77, v176, v77 quad_perm:[1,1,1,1] row_mask:0xf bank_mask:0xf// 000000007A7C: 069A9AFA FF0055B0
	v_subrev_f32_dpp v78, v176, v78 quad_perm:[2,2,2,2] row_mask:0xf bank_mask:0xf// 000000007A84: 069C9CFA FF00AAB0
	v_subrev_f32_dpp v79, v176, v79 quad_perm:[3,3,3,3] row_mask:0xf bank_mask:0xf// 000000007A8C: 069E9EFA FF00FFB0
	v_subrev_f32_dpp v80, v176, v80 quad_perm:[0,0,0,0] row_mask:0xf bank_mask:0xf// 000000007A94: 06A0A0FA FF0000B0
	v_subrev_f32_dpp v81, v176, v81 quad_perm:[1,1,1,1] row_mask:0xf bank_mask:0xf// 000000007A9C: 06A2A2FA FF0055B0
	v_mfma_f32_16x16x16_bf16 v[184:187], v[126:127], v[164:165], v[184:187]// 000000007AA4: D3E100B8 06E3497E
	v_subrev_f32_dpp v82, v176, v82 quad_perm:[2,2,2,2] row_mask:0xf bank_mask:0xf// 000000007AAC: 06A4A4FA FF00AAB0
	v_subrev_f32_dpp v83, v176, v83 quad_perm:[3,3,3,3] row_mask:0xf bank_mask:0xf// 000000007AB4: 06A6A6FA FF00FFB0
	v_subrev_f32_dpp v84, v176, v84 quad_perm:[0,0,0,0] row_mask:0xf bank_mask:0xf// 000000007ABC: 06A8A8FA FF0000B0
	v_subrev_f32_dpp v85, v176, v85 quad_perm:[1,1,1,1] row_mask:0xf bank_mask:0xf// 000000007AC4: 06AAAAFA FF0055B0
	v_subrev_f32_dpp v86, v176, v86 quad_perm:[2,2,2,2] row_mask:0xf bank_mask:0xf// 000000007ACC: 06ACACFA FF00AAB0
	v_subrev_f32_dpp v87, v176, v87 quad_perm:[3,3,3,3] row_mask:0xf bank_mask:0xf// 000000007AD4: 06AEAEFA FF00FFB0
	v_mfma_f32_16x16x16_bf16 v[188:191], v[128:129], v[164:165], v[188:191]// 000000007ADC: D3E100BC 06F34980
	v_mul_f32_e32 v76, v52, v76                                // 000000007AE4: 0A989934
	v_mul_f32_e32 v77, v53, v77                                // 000000007AE8: 0A9A9B35
	v_mul_f32_e32 v78, v54, v78                                // 000000007AEC: 0A9C9D36
	v_mul_f32_e32 v79, v55, v79                                // 000000007AF0: 0A9E9F37
	v_mul_f32_e32 v80, v56, v80                                // 000000007AF4: 0AA0A138
	v_mul_f32_e32 v81, v57, v81                                // 000000007AF8: 0AA2A339
	v_mfma_f32_16x16x16_bf16 v[192:195], v[130:131], v[164:165], v[192:195]// 000000007AFC: D3E100C0 07034982
	v_mul_f32_e32 v82, v58, v82                                // 000000007B04: 0AA4A53A
	v_mul_f32_e32 v83, v59, v83                                // 000000007B08: 0AA6A73B
	v_mul_f32_e32 v84, v60, v84                                // 000000007B0C: 0AA8A93C
	v_mul_f32_e32 v85, v61, v85                                // 000000007B10: 0AAAAB3D
	v_mul_f32_e32 v86, v62, v86                                // 000000007B14: 0AACAD3E
	v_mul_f32_e32 v87, v63, v87                                // 000000007B18: 0AAEAF3F
	v_mfma_f32_16x16x16_bf16 v[196:199], v[124:125], v[166:167], v[196:199]// 000000007B1C: D3E100C4 07134D7C
	v_cmp_u_f32_e64 s[78:79], v76, v76                         // 000000007B24: D048004E 0002994C
	v_add3_u32 v228, v76, v231, 1                              // 000000007B2C: D1FF00E4 0207CF4C
	v_cndmask_b32_e64 v32, v228, v230, s[78:79]                // 000000007B34: D1000020 013BCDE4
	v_cmp_u_f32_e64 s[78:79], v77, v77                         // 000000007B3C: D048004E 00029B4D
	v_add3_u32 v228, v77, v231, 1                              // 000000007B44: D1FF00E4 0207CF4D
	v_cndmask_b32_e64 v33, v228, v230, s[78:79]                // 000000007B4C: D1000021 013BCDE4
	v_perm_b32 v76, v33, v32, s64                              // 000000007B54: D1ED004C 01024121
	v_cmp_u_f32_e64 s[78:79], v78, v78                         // 000000007B5C: D048004E 00029D4E
	v_add3_u32 v228, v78, v231, 1                              // 000000007B64: D1FF00E4 0207CF4E
	v_cndmask_b32_e64 v32, v228, v230, s[78:79]                // 000000007B6C: D1000020 013BCDE4
	v_cmp_u_f32_e64 s[78:79], v79, v79                         // 000000007B74: D048004E 00029F4F
	v_add3_u32 v228, v79, v231, 1                              // 000000007B7C: D1FF00E4 0207CF4F
	v_cndmask_b32_e64 v33, v228, v230, s[78:79]                // 000000007B84: D1000021 013BCDE4
	v_perm_b32 v77, v33, v32, s64                              // 000000007B8C: D1ED004D 01024121
	v_cmp_u_f32_e64 s[78:79], v80, v80                         // 000000007B94: D048004E 0002A150
	v_add3_u32 v228, v80, v231, 1                              // 000000007B9C: D1FF00E4 0207CF50
	v_cndmask_b32_e64 v32, v228, v230, s[78:79]                // 000000007BA4: D1000020 013BCDE4
	v_cmp_u_f32_e64 s[78:79], v81, v81                         // 000000007BAC: D048004E 0002A351
	v_add3_u32 v228, v81, v231, 1                              // 000000007BB4: D1FF00E4 0207CF51
	v_cndmask_b32_e64 v33, v228, v230, s[78:79]                // 000000007BBC: D1000021 013BCDE4
	v_perm_b32 v78, v33, v32, s64                              // 000000007BC4: D1ED004E 01024121
	v_cmp_u_f32_e64 s[78:79], v82, v82                         // 000000007BCC: D048004E 0002A552
	v_add3_u32 v228, v82, v231, 1                              // 000000007BD4: D1FF00E4 0207CF52
	v_cndmask_b32_e64 v32, v228, v230, s[78:79]                // 000000007BDC: D1000020 013BCDE4
	v_cmp_u_f32_e64 s[78:79], v83, v83                         // 000000007BE4: D048004E 0002A753
	v_add3_u32 v228, v83, v231, 1                              // 000000007BEC: D1FF00E4 0207CF53
	v_cndmask_b32_e64 v33, v228, v230, s[78:79]                // 000000007BF4: D1000021 013BCDE4
	v_perm_b32 v79, v33, v32, s64                              // 000000007BFC: D1ED004F 01024121
	v_cmp_u_f32_e64 s[78:79], v84, v84                         // 000000007C04: D048004E 0002A954
	v_add3_u32 v228, v84, v231, 1                              // 000000007C0C: D1FF00E4 0207CF54
	v_cndmask_b32_e64 v32, v228, v230, s[78:79]                // 000000007C14: D1000020 013BCDE4
	v_cmp_u_f32_e64 s[78:79], v85, v85                         // 000000007C1C: D048004E 0002AB55
	v_add3_u32 v228, v85, v231, 1                              // 000000007C24: D1FF00E4 0207CF55
	v_cndmask_b32_e64 v33, v228, v230, s[78:79]                // 000000007C2C: D1000021 013BCDE4
	v_perm_b32 v80, v33, v32, s64                              // 000000007C34: D1ED0050 01024121
	v_cmp_u_f32_e64 s[78:79], v86, v86                         // 000000007C3C: D048004E 0002AD56
	v_add3_u32 v228, v86, v231, 1                              // 000000007C44: D1FF00E4 0207CF56
	v_cndmask_b32_e64 v32, v228, v230, s[78:79]                // 000000007C4C: D1000020 013BCDE4
	v_cmp_u_f32_e64 s[78:79], v87, v87                         // 000000007C54: D048004E 0002AF57
	v_add3_u32 v228, v87, v231, 1                              // 000000007C5C: D1FF00E4 0207CF57
	v_cndmask_b32_e64 v33, v228, v230, s[78:79]                // 000000007C64: D1000021 013BCDE4
	v_perm_b32 v81, v33, v32, s64                              // 000000007C6C: D1ED0051 01024121
	v_mfma_f32_16x16x16_bf16 v[200:203], v[126:127], v[166:167], v[200:203]// 000000007C74: D3E100C8 07234D7E
	v_mov_b32_dpp v18, v76 quad_perm:[1,0,3,2] row_mask:0xf bank_mask:0xf// 000000007C7C: 7E2402FA FF00B14C
	v_perm_b32 v52, v18, v76, v17                              // 000000007C84: D1ED0034 04469912
	v_mov_b32_dpp v18, v77 quad_perm:[1,0,3,2] row_mask:0xf bank_mask:0xf// 000000007C8C: 7E2402FA FF00B14D
	v_perm_b32 v53, v18, v77, v17                              // 000000007C94: D1ED0035 04469B12
	v_mov_b32_dpp v18, v78 quad_perm:[1,0,3,2] row_mask:0xf bank_mask:0xf// 000000007C9C: 7E2402FA FF00B14E
	v_perm_b32 v54, v18, v78, v17                              // 000000007CA4: D1ED0036 04469D12
	v_mfma_f32_16x16x16_bf16 v[204:207], v[128:129], v[166:167], v[204:207]// 000000007CAC: D3E100CC 07334D80
	v_mov_b32_dpp v18, v79 quad_perm:[1,0,3,2] row_mask:0xf bank_mask:0xf// 000000007CB4: 7E2402FA FF00B14F
	v_perm_b32 v55, v18, v79, v17                              // 000000007CBC: D1ED0037 04469F12
	v_mov_b32_dpp v18, v80 quad_perm:[1,0,3,2] row_mask:0xf bank_mask:0xf// 000000007CC4: 7E2402FA FF00B150
	v_perm_b32 v56, v18, v80, v17                              // 000000007CCC: D1ED0038 0446A112
	v_mov_b32_dpp v18, v81 quad_perm:[1,0,3,2] row_mask:0xf bank_mask:0xf// 000000007CD4: 7E2402FA FF00B151
	v_perm_b32 v57, v18, v81, v17                              // 000000007CDC: D1ED0039 0446A312
	v_mfma_f32_16x16x16_bf16 v[208:211], v[130:131], v[166:167], v[208:211]// 000000007CE4: D3E100D0 07434D82
	ds_write_b32 v20, v52 offset:17408                         // 000000007CEC: D81A4400 00003414
	ds_write_b32 v20, v53 offset:17952                         // 000000007CF4: D81A4620 00003514
	v_mfma_f32_16x16x16_bf16 v[212:215], v[124:125], v[168:169], v[212:215]// 000000007CFC: D3E100D4 0753517C
	v_subrev_f32_dpp v88, v177, v88 quad_perm:[0,0,0,0] row_mask:0xf bank_mask:0xf// 000000007D04: 06B0B0FA FF0000B1
	v_subrev_f32_dpp v89, v177, v89 quad_perm:[1,1,1,1] row_mask:0xf bank_mask:0xf// 000000007D0C: 06B2B2FA FF0055B1
	v_subrev_f32_dpp v90, v177, v90 quad_perm:[2,2,2,2] row_mask:0xf bank_mask:0xf// 000000007D14: 06B4B4FA FF00AAB1
	v_subrev_f32_dpp v91, v177, v91 quad_perm:[3,3,3,3] row_mask:0xf bank_mask:0xf// 000000007D1C: 06B6B6FA FF00FFB1
	v_subrev_f32_dpp v92, v177, v92 quad_perm:[0,0,0,0] row_mask:0xf bank_mask:0xf// 000000007D24: 06B8B8FA FF0000B1
	v_subrev_f32_dpp v93, v177, v93 quad_perm:[1,1,1,1] row_mask:0xf bank_mask:0xf// 000000007D2C: 06BABAFA FF0055B1
	v_mfma_f32_16x16x16_bf16 v[216:219], v[126:127], v[168:169], v[216:219]// 000000007D34: D3E100D8 0763517E
	ds_write_b32 v20, v54 offset:19712                         // 000000007D3C: D81A4D00 00003614
	ds_write_b32 v20, v55 offset:20256                         // 000000007D44: D81A4F20 00003714
	v_mfma_f32_16x16x16_bf16 v[220:223], v[128:129], v[168:169], v[220:223]// 000000007D4C: D3E100DC 07735180
	v_subrev_f32_dpp v94, v177, v94 quad_perm:[2,2,2,2] row_mask:0xf bank_mask:0xf// 000000007D54: 06BCBCFA FF00AAB1
	v_subrev_f32_dpp v95, v177, v95 quad_perm:[3,3,3,3] row_mask:0xf bank_mask:0xf// 000000007D5C: 06BEBEFA FF00FFB1
	v_subrev_f32_dpp v96, v177, v96 quad_perm:[0,0,0,0] row_mask:0xf bank_mask:0xf// 000000007D64: 06C0C0FA FF0000B1
	v_subrev_f32_dpp v97, v177, v97 quad_perm:[1,1,1,1] row_mask:0xf bank_mask:0xf// 000000007D6C: 06C2C2FA FF0055B1
	v_subrev_f32_dpp v98, v177, v98 quad_perm:[2,2,2,2] row_mask:0xf bank_mask:0xf// 000000007D74: 06C4C4FA FF00AAB1
	v_subrev_f32_dpp v99, v177, v99 quad_perm:[3,3,3,3] row_mask:0xf bank_mask:0xf// 000000007D7C: 06C6C6FA FF00FFB1
	v_mfma_f32_16x16x16_bf16 v[224:227], v[130:131], v[168:169], v[224:227]// 000000007D84: D3E100E0 07835182
	ds_write_b32 v20, v56 offset:22016                         // 000000007D8C: D81A5600 00003814
	ds_write_b32 v20, v57 offset:22560                         // 000000007D94: D81A5820 00003914
	v_mfma_f32_16x16x16_bf16 v[180:183], v[132:133], v[170:171], v[180:183]// 000000007D9C: D3E100B4 06D35584
	v_mul_f32_e32 v88, v64, v88                                // 000000007DA4: 0AB0B140
	v_mul_f32_e32 v89, v65, v89                                // 000000007DA8: 0AB2B341
	v_mul_f32_e32 v90, v66, v90                                // 000000007DAC: 0AB4B542
	v_mul_f32_e32 v91, v67, v91                                // 000000007DB0: 0AB6B743
	v_mul_f32_e32 v92, v68, v92                                // 000000007DB4: 0AB8B944
	v_mul_f32_e32 v93, v69, v93                                // 000000007DB8: 0ABABB45
	v_mfma_f32_16x16x16_bf16 v[184:187], v[134:135], v[170:171], v[184:187]// 000000007DBC: D3E100B8 06E35586
	v_mul_f32_e32 v94, v70, v94                                // 000000007DC4: 0ABCBD46
	v_mul_f32_e32 v95, v71, v95                                // 000000007DC8: 0ABEBF47
	v_mul_f32_e32 v96, v72, v96                                // 000000007DCC: 0AC0C148
	v_mul_f32_e32 v97, v73, v97                                // 000000007DD0: 0AC2C349
	v_mul_f32_e32 v98, v74, v98                                // 000000007DD4: 0AC4C54A
	v_mul_f32_e32 v99, v75, v99                                // 000000007DD8: 0AC6C74B
	v_mfma_f32_16x16x16_bf16 v[188:191], v[136:137], v[170:171], v[188:191]// 000000007DDC: D3E100BC 06F35588
	v_cmp_u_f32_e64 s[78:79], v88, v88                         // 000000007DE4: D048004E 0002B158
	v_add3_u32 v228, v88, v231, 1                              // 000000007DEC: D1FF00E4 0207CF58
	v_cndmask_b32_e64 v32, v228, v230, s[78:79]                // 000000007DF4: D1000020 013BCDE4
	v_cmp_u_f32_e64 s[78:79], v89, v89                         // 000000007DFC: D048004E 0002B359
	v_add3_u32 v228, v89, v231, 1                              // 000000007E04: D1FF00E4 0207CF59
	v_cndmask_b32_e64 v33, v228, v230, s[78:79]                // 000000007E0C: D1000021 013BCDE4
	v_perm_b32 v82, v33, v32, s64                              // 000000007E14: D1ED0052 01024121
	v_cmp_u_f32_e64 s[78:79], v90, v90                         // 000000007E1C: D048004E 0002B55A
	v_add3_u32 v228, v90, v231, 1                              // 000000007E24: D1FF00E4 0207CF5A
	v_cndmask_b32_e64 v32, v228, v230, s[78:79]                // 000000007E2C: D1000020 013BCDE4
	v_cmp_u_f32_e64 s[78:79], v91, v91                         // 000000007E34: D048004E 0002B75B
	v_add3_u32 v228, v91, v231, 1                              // 000000007E3C: D1FF00E4 0207CF5B
	v_cndmask_b32_e64 v33, v228, v230, s[78:79]                // 000000007E44: D1000021 013BCDE4
	v_perm_b32 v83, v33, v32, s64                              // 000000007E4C: D1ED0053 01024121
	v_cmp_u_f32_e64 s[78:79], v92, v92                         // 000000007E54: D048004E 0002B95C
	v_add3_u32 v228, v92, v231, 1                              // 000000007E5C: D1FF00E4 0207CF5C
	v_cndmask_b32_e64 v32, v228, v230, s[78:79]                // 000000007E64: D1000020 013BCDE4
	v_cmp_u_f32_e64 s[78:79], v93, v93                         // 000000007E6C: D048004E 0002BB5D
	v_add3_u32 v228, v93, v231, 1                              // 000000007E74: D1FF00E4 0207CF5D
	v_cndmask_b32_e64 v33, v228, v230, s[78:79]                // 000000007E7C: D1000021 013BCDE4
	v_perm_b32 v84, v33, v32, s64                              // 000000007E84: D1ED0054 01024121
	v_cmp_u_f32_e64 s[78:79], v94, v94                         // 000000007E8C: D048004E 0002BD5E
	v_add3_u32 v228, v94, v231, 1                              // 000000007E94: D1FF00E4 0207CF5E
	v_cndmask_b32_e64 v32, v228, v230, s[78:79]                // 000000007E9C: D1000020 013BCDE4
	v_cmp_u_f32_e64 s[78:79], v95, v95                         // 000000007EA4: D048004E 0002BF5F
	v_add3_u32 v228, v95, v231, 1                              // 000000007EAC: D1FF00E4 0207CF5F
	v_cndmask_b32_e64 v33, v228, v230, s[78:79]                // 000000007EB4: D1000021 013BCDE4
	v_perm_b32 v85, v33, v32, s64                              // 000000007EBC: D1ED0055 01024121
	v_cmp_u_f32_e64 s[78:79], v96, v96                         // 000000007EC4: D048004E 0002C160
	v_add3_u32 v228, v96, v231, 1                              // 000000007ECC: D1FF00E4 0207CF60
	v_cndmask_b32_e64 v32, v228, v230, s[78:79]                // 000000007ED4: D1000020 013BCDE4
	v_cmp_u_f32_e64 s[78:79], v97, v97                         // 000000007EDC: D048004E 0002C361
	v_add3_u32 v228, v97, v231, 1                              // 000000007EE4: D1FF00E4 0207CF61
	v_cndmask_b32_e64 v33, v228, v230, s[78:79]                // 000000007EEC: D1000021 013BCDE4
	v_perm_b32 v86, v33, v32, s64                              // 000000007EF4: D1ED0056 01024121
	v_cmp_u_f32_e64 s[78:79], v98, v98                         // 000000007EFC: D048004E 0002C562
	v_add3_u32 v228, v98, v231, 1                              // 000000007F04: D1FF00E4 0207CF62
	v_cndmask_b32_e64 v32, v228, v230, s[78:79]                // 000000007F0C: D1000020 013BCDE4
	v_cmp_u_f32_e64 s[78:79], v99, v99                         // 000000007F14: D048004E 0002C763
	v_add3_u32 v228, v99, v231, 1                              // 000000007F1C: D1FF00E4 0207CF63
	v_cndmask_b32_e64 v33, v228, v230, s[78:79]                // 000000007F24: D1000021 013BCDE4
	v_perm_b32 v87, v33, v32, s64                              // 000000007F2C: D1ED0057 01024121
	v_mfma_f32_16x16x16_bf16 v[192:195], v[138:139], v[170:171], v[192:195]// 000000007F34: D3E100C0 0703558A
	v_mov_b32_dpp v18, v82 quad_perm:[1,0,3,2] row_mask:0xf bank_mask:0xf// 000000007F3C: 7E2402FA FF00B152
	v_perm_b32 v58, v18, v82, v17                              // 000000007F44: D1ED003A 0446A512
	v_mov_b32_dpp v18, v83 quad_perm:[1,0,3,2] row_mask:0xf bank_mask:0xf// 000000007F4C: 7E2402FA FF00B153
	v_perm_b32 v59, v18, v83, v17                              // 000000007F54: D1ED003B 0446A712
	v_mov_b32_dpp v18, v84 quad_perm:[1,0,3,2] row_mask:0xf bank_mask:0xf// 000000007F5C: 7E2402FA FF00B154
	v_perm_b32 v60, v18, v84, v17                              // 000000007F64: D1ED003C 0446A912
	v_mfma_f32_16x16x16_bf16 v[196:199], v[132:133], v[172:173], v[196:199]// 000000007F6C: D3E100C4 07135984
	v_mov_b32_dpp v18, v85 quad_perm:[1,0,3,2] row_mask:0xf bank_mask:0xf// 000000007F74: 7E2402FA FF00B155
	v_perm_b32 v61, v18, v85, v17                              // 000000007F7C: D1ED003D 0446AB12
	v_mov_b32_dpp v18, v86 quad_perm:[1,0,3,2] row_mask:0xf bank_mask:0xf// 000000007F84: 7E2402FA FF00B156
	v_perm_b32 v62, v18, v86, v17                              // 000000007F8C: D1ED003E 0446AD12
	v_mov_b32_dpp v18, v87 quad_perm:[1,0,3,2] row_mask:0xf bank_mask:0xf// 000000007F94: 7E2402FA FF00B157
	v_perm_b32 v63, v18, v87, v17                              // 000000007F9C: D1ED003F 0446AF12
	v_mfma_f32_16x16x16_bf16 v[200:203], v[134:135], v[172:173], v[200:203]// 000000007FA4: D3E100C8 07235986
	ds_write_b32 v20, v58 offset:24320                         // 000000007FAC: D81A5F00 00003A14
	ds_write_b32 v20, v59 offset:24864                         // 000000007FB4: D81A6120 00003B14
	v_mfma_f32_16x16x16_bf16 v[204:207], v[136:137], v[172:173], v[204:207]// 000000007FBC: D3E100CC 07335988
	v_mfma_f32_16x16x16_bf16 v[208:211], v[138:139], v[172:173], v[208:211]// 000000007FC4: D3E100D0 0743598A
	ds_write_b32 v20, v60 offset:26624                         // 000000007FCC: D81A6800 00003C14
	ds_write_b32 v20, v61 offset:27168                         // 000000007FD4: D81A6A20 00003D14
	ds_write_b32 v20, v62 offset:28928                         // 000000007FDC: D81A7100 00003E14
	ds_write_b32 v20, v63 offset:29472                         // 000000007FE4: D81A7320 00003F14
	v_mfma_f32_16x16x16_bf16 v[212:215], v[132:133], v[174:175], v[212:215]// 000000007FEC: D3E100D4 07535D84
	v_mfma_f32_16x16x16_bf16 v[216:219], v[134:135], v[174:175], v[216:219]// 000000007FF4: D3E100D8 07635D86
	ds_write_b32 v15, v100 offset:4352                         // 000000007FFC: D81A1100 0000640F
	ds_write_b32 v15, v101 offset:5408                         // 000000008004: D81A1520 0000650F
	v_mfma_f32_16x16x16_bf16 v[220:223], v[136:137], v[174:175], v[220:223]// 00000000800C: D3E100DC 07735D88
	s_nop 0                                                    // 000000008014: BF800000
	s_nop 0                                                    // 000000008018: BF800000
	s_nop 0                                                    // 00000000801C: BF800000
	v_mfma_f32_16x16x16_bf16 v[224:227], v[138:139], v[174:175], v[224:227]// 000000008020: D3E100E0 07835D8A
	ds_write_b32 v15, v102 offset:6528                         // 000000008028: D81A1980 0000660F
	ds_write_b32 v15, v103 offset:7584                         // 000000008030: D81A1DA0 0000670F
	s_barrier                                                  // 000000008038: BF8A0000
	v_mfma_f32_16x16x16_bf16 a[112:115], a[96:97], v[76:77], a[112:115]// 00000000803C: D3E18070 0DC29960
	buffer_atomic_add_f32 v156, v6, s[32:35], 0 idxen          // 000000008044: E1342000 80089C06
	v_mfma_f32_16x16x16_bf16 a[116:119], a[98:99], v[76:77], a[116:119]// 00000000804C: D3E18074 0DD29962
	ds_read_b32 v140, v23 offset:39424                         // 000000008054: D86C9A00 8C000017
	ds_read_b32 v144, v23 offset:39488                         // 00000000805C: D86C9A40 90000017
	ds_read_b32 v176, v23 offset:39680                         // 000000008064: D86C9B00 B0000017
	ds_read_b32 v177, v23 offset:39744                         // 00000000806C: D86C9B40 B1000017
	v_mfma_f32_16x16x16_bf16 a[120:123], a[100:101], v[76:77], a[120:123]// 000000008074: D3E18078 0DE29964
	s_waitcnt lgkmcnt(8)                                       // 00000000807C: BF8CC87F
	s_barrier                                                  // 000000008080: BF8A0000
	v_mfma_f32_16x16x16_bf16 a[124:127], a[102:103], v[76:77], a[124:127]// 000000008084: D3E1807C 0DF29966
	ds_read_b128 v[52:55], v19 offset:17408                    // 00000000808C: D9FE4400 34000013
	v_mfma_f32_16x16x16_bf16 a[128:131], a[96:97], v[78:79], a[128:131]// 000000008094: D3E18080 0E029D60
	v_mfma_f32_16x16x16_bf16 a[132:135], a[98:99], v[78:79], a[132:135]// 00000000809C: D3E18084 0E129D62
	ds_read_b128 v[56:59], v19 offset:18560                    // 0000000080A4: D9FE4880 38000013
	v_mfma_f32_16x16x16_bf16 a[136:139], a[100:101], v[78:79], a[136:139]// 0000000080AC: D3E18088 0E229D64
	buffer_atomic_add_f32 v157, v7, s[32:35], 0 idxen          // 0000000080B4: E1342000 80089D07
	v_mfma_f32_16x16x16_bf16 a[140:143], a[102:103], v[78:79], a[140:143]// 0000000080BC: D3E1808C 0E329D66
	ds_read_b128 v[60:63], v19 offset:19712                    // 0000000080C4: D9FE4D00 3C000013
	v_mfma_f32_16x16x16_bf16 a[144:147], a[96:97], v[80:81], a[144:147]// 0000000080CC: D3E18090 0E42A160
	v_mfma_f32_16x16x16_bf16 a[148:151], a[98:99], v[80:81], a[148:151]// 0000000080D4: D3E18094 0E52A162
	ds_read_b128 v[64:67], v19 offset:20864                    // 0000000080DC: D9FE5180 40000013
	v_mfma_f32_16x16x16_bf16 a[152:155], a[100:101], v[80:81], a[152:155]// 0000000080E4: D3E18098 0E62A164
	v_mfma_f32_16x16x16_bf16 a[156:159], a[102:103], v[80:81], a[156:159]// 0000000080EC: D3E1809C 0E72A166
	ds_read_b128 v[68:71], v19 offset:22016                    // 0000000080F4: D9FE5600 44000013
	v_mfma_f32_16x16x16_bf16 a[112:115], a[104:105], v[82:83], a[112:115]// 0000000080FC: D3E18070 0DC2A568
	buffer_atomic_add_f32 v158, v6, s[32:35], 0 idxen offset:128// 000000008104: E1342080 80089E06
	v_mfma_f32_16x16x16_bf16 a[116:119], a[106:107], v[82:83], a[116:119]// 00000000810C: D3E18074 0DD2A56A
	ds_read_b128 v[72:75], v19 offset:23168                    // 000000008114: D9FE5A80 48000013
	v_mfma_f32_16x16x16_bf16 a[120:123], a[108:109], v[82:83], a[120:123]// 00000000811C: D3E18078 0DE2A56C
	v_mfma_f32_16x16x16_bf16 a[124:127], a[110:111], v[82:83], a[124:127]// 000000008124: D3E1807C 0DF2A56E
	ds_write_b32 v15, v104 offset:13056                        // 00000000812C: D81A3300 0000680F
	v_mfma_f32_16x16x16_bf16 a[128:131], a[104:105], v[84:85], a[128:131]// 000000008134: D3E18080 0E02A968
	v_mfma_f32_16x16x16_bf16 a[132:135], a[106:107], v[84:85], a[132:135]// 00000000813C: D3E18084 0E12A96A
	ds_write_b32 v15, v105 offset:14112                        // 000000008144: D81A3720 0000690F
	v_mfma_f32_16x16x16_bf16 a[136:139], a[108:109], v[84:85], a[136:139]// 00000000814C: D3E18088 0E22A96C
	buffer_atomic_add_f32 v159, v7, s[32:35], 0 idxen offset:128// 000000008154: E1342080 80089F07
	v_mfma_f32_16x16x16_bf16 a[140:143], a[110:111], v[84:85], a[140:143]// 00000000815C: D3E1808C 0E32A96E
	ds_write_b32 v15, v106 offset:15232                        // 000000008164: D81A3B80 00006A0F
	v_mfma_f32_16x16x16_bf16 a[144:147], a[104:105], v[86:87], a[144:147]// 00000000816C: D3E18090 0E42AD68
	v_mfma_f32_16x16x16_bf16 a[148:151], a[106:107], v[86:87], a[148:151]// 000000008174: D3E18094 0E52AD6A
	ds_write_b32 v15, v107 offset:16288                        // 00000000817C: D81A3FA0 00006B0F
	v_mfma_f32_16x16x16_bf16 a[152:155], a[108:109], v[86:87], a[152:155]// 000000008184: D3E18098 0E62AD6C
	v_mfma_f32_16x16x16_bf16 a[156:159], a[110:111], v[86:87], a[156:159]// 00000000818C: D3E1809C 0E72AD6E
	s_waitcnt vmcnt(8) lgkmcnt(4)                              // 000000008194: BF8C0478
	s_barrier                                                  // 000000008198: BF8A0000
	v_mfma_f32_16x16x16_bf16 v[148:151], v[52:53], a[24:25], 0 // 00000000819C: D3E10094 12023134
	v_mul_f32_e32 v140, s48, v140                              // 0000000081A4: 0B191830
	v_mul_f32_e32 v144, s48, v144                              // 0000000081A8: 0B212030
	s_nop 0                                                    // 0000000081AC: BF800000
	v_mfma_f32_16x16x16_bf16 v[148:151], v[54:55], a[28:29], v[148:151]// 0000000081B0: D3E10094 16523936
	ds_read_b128 a[96:99], v12                                 // 0000000081B8: DBFE0000 6000000C
	buffer_load_dword v36, v1, s[8:11], 0 idxen                // 0000000081C0: E0502000 80022401
	v_mfma_f32_16x16x16_bf16 v[148:151], v[56:57], a[32:33], v[148:151]// 0000000081C8: D3E10094 16524138
	v_mfma_f32_16x16x16_bf16 v[148:151], v[58:59], a[36:37], v[148:151]// 0000000081D0: D3E10094 1652493A
	ds_read_b128 a[100:103], v12 offset:512                    // 0000000081D8: DBFE0200 6400000C
	buffer_load_dword v37, v2, s[8:11], 0 idxen                // 0000000081E0: E0502000 80022502
	v_mfma_f32_16x16x16_bf16 v[148:151], v[60:61], a[40:41], v[148:151]// 0000000081E8: D3E10094 1652513C
	v_perm_b32 v100, v41, v40, s63                             // 0000000081F0: D1ED0064 00FE5129
	v_perm_b32 v101, v41, v40, s64                             // 0000000081F8: D1ED0065 01025129
	v_mfma_f32_16x16x16_bf16 v[148:151], v[62:63], a[44:45], v[148:151]// 000000008200: D3E10094 1652593E
	ds_read_b128 a[104:107], v12 offset:2176                   // 000000008208: DBFE0880 6800000C
	buffer_load_dword v38, v3, s[8:11], 0 idxen                // 000000008210: E0502000 80022603
	v_mfma_f32_16x16x16_bf16 v[148:151], v[64:65], a[48:49], v[148:151]// 000000008218: D3E10094 16526140
	v_perm_b32 v102, v43, v42, s63                             // 000000008220: D1ED0066 00FE552B
	v_perm_b32 v103, v43, v42, s64                             // 000000008228: D1ED0067 0102552B
	v_mfma_f32_16x16x16_bf16 v[148:151], v[66:67], a[52:53], v[148:151]// 000000008230: D3E10094 16526942
	ds_read_b128 a[108:111], v12 offset:2688                   // 000000008238: DBFE0A80 6C00000C
	buffer_load_dword v39, v4, s[8:11], 0 idxen                // 000000008240: E0502000 80022704
	v_mfma_f32_16x16x16_bf16 v[148:151], v[68:69], a[56:57], v[148:151]// 000000008248: D3E10094 16527144
	v_perm_b32 v104, v49, v48, s63                             // 000000008250: D1ED0068 00FE6131
	v_perm_b32 v105, v49, v48, s64                             // 000000008258: D1ED0069 01026131
	v_mfma_f32_16x16x16_bf16 v[148:151], v[70:71], a[60:61], v[148:151]// 000000008260: D3E10094 16527946
	ds_read_b128 v[108:111], v12 offset:8704                   // 000000008268: D9FE2200 6C00000C
	buffer_load_dword v44, v232, s[20:23], 0 idxen             // 000000008270: E0502000 80052CE8
	v_mfma_f32_16x16x16_bf16 v[148:151], v[72:73], a[64:65], v[148:151]// 000000008278: D3E10094 16528148
	v_perm_b32 v106, v51, v50, s63                             // 000000008280: D1ED006A 00FE6533
	v_perm_b32 v107, v51, v50, s64                             // 000000008288: D1ED006B 01026533
	v_mfma_f32_16x16x16_bf16 v[148:151], v[74:75], a[68:69], v[148:151]// 000000008290: D3E10094 1652894A
	ds_read_b128 v[112:115], v12 offset:9216                   // 000000008298: D9FE2400 7000000C
	buffer_load_dword v45, v233, s[20:23], 0 idxen             // 0000000082A0: E0502000 80052DE9
	v_mfma_f32_16x16x16_bf16 v[152:155], v[52:53], a[26:27], 0 // 0000000082A8: D3E10098 12023534
	v_mov_b32_dpp v143, v140 quad_perm:[3,3,3,3] row_mask:0xf bank_mask:0xf// 0000000082B0: 7F1E02FA FF00FF8C
	v_mov_b32_dpp v142, v140 quad_perm:[2,2,2,2] row_mask:0xf bank_mask:0xf// 0000000082B8: 7F1C02FA FF00AA8C
	v_mov_b32_dpp v141, v140 quad_perm:[1,1,1,1] row_mask:0xf bank_mask:0xf// 0000000082C0: 7F1A02FA FF00558C
	v_mov_b32_dpp v140, v140 quad_perm:[0,0,0,0] row_mask:0xf bank_mask:0xf// 0000000082C8: 7F1802FA FF00008C
	v_mfma_f32_16x16x16_bf16 v[152:155], v[54:55], a[30:31], v[152:155]// 0000000082D0: D3E10098 16623D36
	ds_read_b128 v[116:119], v12 offset:10880                  // 0000000082D8: D9FE2A80 7400000C
	buffer_load_dword v46, v234, s[20:23], 0 idxen             // 0000000082E0: E0502000 80052EEA
	v_mfma_f32_16x16x16_bf16 v[152:155], v[56:57], a[34:35], v[152:155]// 0000000082E8: D3E10098 16624538
	v_mov_b32_dpp v147, v144 quad_perm:[3,3,3,3] row_mask:0xf bank_mask:0xf// 0000000082F0: 7F2602FA FF00FF90
	v_mov_b32_dpp v146, v144 quad_perm:[2,2,2,2] row_mask:0xf bank_mask:0xf// 0000000082F8: 7F2402FA FF00AA90
	v_mov_b32_dpp v145, v144 quad_perm:[1,1,1,1] row_mask:0xf bank_mask:0xf// 000000008300: 7F2202FA FF005590
	v_mov_b32_dpp v144, v144 quad_perm:[0,0,0,0] row_mask:0xf bank_mask:0xf// 000000008308: 7F2002FA FF000090
	s_add_u32 s60, 0x80, s59                                   // 000000008310: 803C3BFF 00000080
	v_mfma_f32_16x16x16_bf16 v[152:155], v[58:59], a[38:39], v[152:155]// 000000008318: D3E10098 16624D3A
	ds_read_b128 v[120:123], v12 offset:11392                  // 000000008320: D9FE2C80 7800000C
	buffer_load_dword v47, v235, s[20:23], 0 idxen             // 000000008328: E0502000 80052FEB
	v_mfma_f32_16x16x16_bf16 v[152:155], v[60:61], a[42:43], v[152:155]// 000000008330: D3E10098 1662553C
	s_cmp_lt_u32 s60, s58                                      // 000000008338: BF0A3A3C
	s_cselect_b32 s68, s68, 0                                  // 00000000833C: 85448044
	s_cselect_b32 s100, s100, 0                                // 000000008340: 85648064
	s_cselect_b32 s69, s69, 0                                  // 000000008344: 85458045
	v_mfma_f32_16x16x16_bf16 v[152:155], v[62:63], a[46:47], v[152:155]// 000000008348: D3E10098 16625D3E
	buffer_load_dword v11, s[24:27], 0 idxen lds               // 000000008350: E0512000 8006000B
	v_mfma_f32_16x16x16_bf16 v[152:155], v[64:65], a[50:51], v[152:155]// 000000008358: D3E10098 16626540
	v_add_u32_e32 v1, s68, v1                                  // 000000008360: 68020244
	v_add_u32_e32 v2, s68, v2                                  // 000000008364: 68040444
	;; [unrolled: 1-line block ×3, first 2 shown]
	v_add_u32_e32 v4, s68, v4                                  // 00000000836C: 68080844
	v_mfma_f32_16x16x16_bf16 v[152:155], v[66:67], a[54:55], v[152:155]// 000000008370: D3E10098 16626D42
	v_add_u32_e32 v232, s100, v232                             // 000000008378: 69D1D064
	v_add_u32_e32 v233, s100, v233                             // 00000000837C: 69D3D264
	v_add_u32_e32 v234, s100, v234                             // 000000008380: 69D5D464
	v_add_u32_e32 v235, s100, v235                             // 000000008384: 69D7D664
	v_mfma_f32_16x16x16_bf16 v[152:155], v[68:69], a[58:59], v[152:155]// 000000008388: D3E10098 16627544
	s_mov_b32 m0, s81                                          // 000000008390: BEFC0051
	v_add_u32_e32 v11, s69, v11                                // 000000008394: 68161645
	v_mfma_f32_16x16x16_bf16 v[152:155], v[70:71], a[62:63], v[152:155]// 000000008398: D3E10098 16627D46
	s_cmp_ge_u32 s59, s73                                      // 0000000083A0: BF09493B
	s_cselect_b32 s66, s67, s66                                // 0000000083A4: 85424243
	v_mfma_f32_16x16x16_bf16 v[152:155], v[72:73], a[66:67], v[152:155]// 0000000083A8: D3E10098 16628548
	s_addk_i32 s59, 0x20                                       // 0000000083B0: B73B0020
	s_nop 0                                                    // 0000000083B4: BF800000
	s_cmp_lt_i32 s59, s58                                      // 0000000083B8: BF043A3B
	v_mfma_f32_16x16x16_bf16 v[152:155], v[74:75], a[70:71], v[152:155]// 0000000083BC: D3E10098 16628D4A
	s_cbranch_scc0 label_1105                                  // 0000000083C4: BF840001
	s_branch label_065E                                        // 0000000083C8: BF82F56B

00000000000083cc <label_1105>:
	s_nop 0                                                    // 0000000083CC: BF800000
	s_nop 0                                                    // 0000000083D0: BF800000
	s_branch label_1BAF                                        // 0000000083D4: BF820A95

00000000000083d8 <label_1108>:
	s_waitcnt lgkmcnt(4)                                       // 0000000083D8: BF8CC47F
	s_barrier                                                  // 0000000083DC: BF8A0000
	v_mfma_f32_16x16x16_bf16 v[52:55], a[96:97], a[0:1], 0     // 0000000083E0: D3E10034 1A020160
	v_mul_f32_e32 v148, s47, v148                              // 0000000083E8: 0B29282F
	v_mul_f32_e32 v149, s47, v149                              // 0000000083EC: 0B2B2A2F
	v_mfma_f32_16x16x16_bf16 v[52:55], a[98:99], a[2:3], v[52:55]// 0000000083F0: D3E10034 1CD20562
	ds_write_b32 v13, v48 offset:8704                          // 0000000083F8: D81A2200 0000300D
	ds_write_b32 v13, v49 offset:9760                          // 000000008400: D81A2620 0000310D
	v_mfma_f32_16x16x16_bf16 v[52:55], a[100:101], a[4:5], v[52:55]// 000000008408: D3E10034 1CD20964
	v_mul_f32_e32 v150, s47, v150                              // 000000008410: 0B2D2C2F
	v_mul_f32_e32 v151, s47, v151                              // 000000008414: 0B2F2E2F
	v_mfma_f32_16x16x16_bf16 v[52:55], a[102:103], a[6:7], v[52:55]// 000000008418: D3E10034 1CD20D66
	ds_write_b32 v13, v50 offset:10880                         // 000000008420: D81A2A80 0000320D
	ds_write_b32 v13, v51 offset:11936                         // 000000008428: D81A2EA0 0000330D
	v_mfma_f32_16x16x16_bf16 v[56:59], a[96:97], a[8:9], 0     // 000000008430: D3E10038 1A021160
	v_mul_f32_e32 v152, s47, v152                              // 000000008438: 0B31302F
	v_mul_f32_e32 v153, s47, v153                              // 00000000843C: 0B33322F
	v_mfma_f32_16x16x16_bf16 v[56:59], a[98:99], a[10:11], v[56:59]// 000000008440: D3E10038 1CE21562
	ds_write_b64 v22, v[148:149] offset:31232                  // 000000008448: D89A7A00 00009416
	v_mfma_f32_16x16x16_bf16 v[56:59], a[100:101], a[12:13], v[56:59]// 000000008450: D3E10038 1CE21964
	v_mul_f32_e32 v154, s47, v154                              // 000000008458: 0B35342F
	v_mul_f32_e32 v155, s47, v155                              // 00000000845C: 0B37362F
	v_mfma_f32_16x16x16_bf16 v[56:59], a[102:103], a[14:15], v[56:59]// 000000008460: D3E10038 1CE21D66
	ds_write_b64 v22, v[150:151] offset:31744                  // 000000008468: D89A7C00 00009616
	v_mfma_f32_16x16x16_bf16 v[60:63], a[96:97], a[16:17], 0   // 000000008470: D3E1003C 1A022160
	buffer_atomic_add_f32 v160, v8, s[32:35], 0 idxen          // 000000008478: E1342000 8008A008
	v_mfma_f32_16x16x16_bf16 v[60:63], a[98:99], a[18:19], v[60:63]// 000000008480: D3E1003C 1CF22562
	ds_write_b64 v22, v[152:153] offset:32256                  // 000000008488: D89A7E00 00009816
	v_mfma_f32_16x16x16_bf16 v[60:63], a[100:101], a[20:21], v[60:63]// 000000008490: D3E1003C 1CF22964
	v_mfma_f32_16x16x16_bf16 v[60:63], a[102:103], a[22:23], v[60:63]// 000000008498: D3E1003C 1CF22D66
	ds_write_b64 v22, v[154:155] offset:32768                  // 0000000084A0: D89A8000 00009A16
	v_mfma_f32_16x16x16_bf16 v[64:67], a[104:105], a[0:1], 0   // 0000000084A8: D3E10040 1A020168
	buffer_atomic_add_f32 v161, v9, s[32:35], 0 idxen          // 0000000084B0: E1342000 8008A109
	v_mfma_f32_16x16x16_bf16 v[64:67], a[106:107], a[2:3], v[64:67]// 0000000084B8: D3E10040 1D02056A
	ds_read_b128 v[124:127], v14 offset:13056                  // 0000000084C0: D9FE3300 7C00000E
	ds_write_b32 v13, v40                                      // 0000000084C8: D81A0000 0000280D
	v_mfma_f32_16x16x16_bf16 v[64:67], a[108:109], a[4:5], v[64:67]// 0000000084D0: D3E10040 1D02096C
	v_mfma_f32_16x16x16_bf16 v[64:67], a[110:111], a[6:7], v[64:67]// 0000000084D8: D3E10040 1D020D6E
	v_mfma_f32_16x16x16_bf16 v[68:71], a[104:105], a[8:9], 0   // 0000000084E0: D3E10044 1A021168
	ds_read_b128 v[128:131], v14 offset:13568                  // 0000000084E8: D9FE3500 8000000E
	ds_write_b32 v13, v41 offset:1056                          // 0000000084F0: D81A0420 0000290D
	v_mfma_f32_16x16x16_bf16 v[68:71], a[106:107], a[10:11], v[68:71]// 0000000084F8: D3E10044 1D12156A
	buffer_atomic_add_f32 v162, v8, s[32:35], 0 idxen offset:128// 000000008500: E1342080 8008A208
	v_mfma_f32_16x16x16_bf16 v[68:71], a[108:109], a[12:13], v[68:71]// 000000008508: D3E10044 1D12196C
	v_mfma_f32_16x16x16_bf16 v[68:71], a[110:111], a[14:15], v[68:71]// 000000008510: D3E10044 1D121D6E
	ds_read_b128 v[132:135], v14 offset:15232                  // 000000008518: D9FE3B80 8400000E
	ds_write_b32 v13, v42 offset:2176                          // 000000008520: D81A0880 00002A0D
	v_mfma_f32_16x16x16_bf16 v[72:75], a[104:105], a[16:17], 0 // 000000008528: D3E10048 1A022168
	v_mfma_f32_16x16x16_bf16 v[72:75], a[106:107], a[18:19], v[72:75]// 000000008530: D3E10048 1D22256A
	buffer_atomic_add_f32 v163, v9, s[32:35], 0 idxen offset:128// 000000008538: E1342080 8008A309
	v_mfma_f32_16x16x16_bf16 v[72:75], a[108:109], a[20:21], v[72:75]// 000000008540: D3E10048 1D22296C
	ds_read_b128 v[136:139], v14 offset:15744                  // 000000008548: D9FE3D80 8800000E
	ds_write_b32 v13, v43 offset:3232                          // 000000008550: D81A0CA0 00002B0D
	v_mfma_f32_16x16x16_bf16 v[72:75], a[110:111], a[22:23], v[72:75]// 000000008558: D3E10048 1D222D6E
	s_cmp_lt_i32 s74, 12                                       // 000000008560: BF048C4A
	s_cbranch_scc0 label_1252                                  // 000000008564: BF8400E6
	s_mov_b32 s60, 0xffe0fffe                                  // 000000008568: BEBC00FF FFE0FFFE
	s_mov_b32 s61, 0xe000fe00                                  // 000000008570: BEBD00FF E000FE00
	s_nop 0                                                    // 000000008578: BF800000
	s_add_u32 s62, 0, s46                                      // 00000000857C: 803E2E80
	s_cmp_lt_i32 s74, s62                                      // 000000008580: BF043E4A
	s_cbranch_scc1 label_119C                                  // 000000008584: BF850028
	s_cmp_eq_i32 s74, s62                                      // 000000008588: BF003E4A
	s_cbranch_scc1 label_1181                                  // 00000000858C: BF85000B
	s_add_u32 s62, 4, s46                                      // 000000008590: 803E2E84
	s_cmp_lt_i32 s74, s62                                      // 000000008594: BF043E4A
	s_cbranch_scc1 label_11BC                                  // 000000008598: BF850043
	s_cmp_eq_i32 s74, s62                                      // 00000000859C: BF003E4A
	s_cbranch_scc1 label_11A1                                  // 0000000085A0: BF850026
	s_add_u32 s62, 8, s46                                      // 0000000085A4: 803E2E88
	s_cmp_lt_i32 s74, s62                                      // 0000000085A8: BF043E4A
	s_cbranch_scc1 label_11DC                                  // 0000000085AC: BF85005E
	s_cmp_eq_i32 s74, s62                                      // 0000000085B0: BF003E4A
	s_cbranch_scc1 label_11C1                                  // 0000000085B4: BF850041
	s_branch label_11E1                                        // 0000000085B8: BF820060

00000000000085bc <label_1181>:
	v_cndmask_b32_e64 v52, v52, v178, s[60:61]                 // 0000000085BC: D1000034 00F36534
	s_lshl_b32 s60, s60, 1                                     // 0000000085C4: 8E3C813C
	s_lshl_b32 s61, s61, 1                                     // 0000000085C8: 8E3D813D
	s_and_b32 s60, 0xfffeffff, s60                             // 0000000085CC: 863C3CFF FFFEFFFF
	s_and_b32 s61, 0xfffeffff, s61                             // 0000000085D4: 863D3DFF FFFEFFFF
	v_cndmask_b32_e64 v53, v53, v178, s[60:61]                 // 0000000085DC: D1000035 00F36535
	s_lshl_b32 s60, s60, 1                                     // 0000000085E4: 8E3C813C
	s_lshl_b32 s61, s61, 1                                     // 0000000085E8: 8E3D813D
	s_and_b32 s60, 0xfffeffff, s60                             // 0000000085EC: 863C3CFF FFFEFFFF
	s_and_b32 s61, 0xfffeffff, s61                             // 0000000085F4: 863D3DFF FFFEFFFF
	v_cndmask_b32_e64 v54, v54, v178, s[60:61]                 // 0000000085FC: D1000036 00F36536
	s_lshl_b32 s60, s60, 1                                     // 000000008604: 8E3C813C
	s_lshl_b32 s61, s61, 1                                     // 000000008608: 8E3D813D
	s_and_b32 s60, 0xfffeffff, s60                             // 00000000860C: 863C3CFF FFFEFFFF
	s_and_b32 s61, 0xfffeffff, s61                             // 000000008614: 863D3DFF FFFEFFFF
	v_cndmask_b32_e64 v55, v55, v178, s[60:61]                 // 00000000861C: D1000037 00F36537
	s_branch label_11BC                                        // 000000008624: BF820020

0000000000008628 <label_119C>:
	v_mov_b32_e32 v52, v178                                    // 000000008628: 7E6803B2
	v_mov_b32_e32 v53, v178                                    // 00000000862C: 7E6A03B2
	v_mov_b32_e32 v54, v178                                    // 000000008630: 7E6C03B2
	v_mov_b32_e32 v55, v178                                    // 000000008634: 7E6E03B2
	s_branch label_11BC                                        // 000000008638: BF82001B

000000000000863c <label_11A1>:
	v_cndmask_b32_e64 v56, v56, v178, s[60:61]                 // 00000000863C: D1000038 00F36538
	s_lshl_b32 s60, s60, 1                                     // 000000008644: 8E3C813C
	s_lshl_b32 s61, s61, 1                                     // 000000008648: 8E3D813D
	s_and_b32 s60, 0xfffeffff, s60                             // 00000000864C: 863C3CFF FFFEFFFF
	s_and_b32 s61, 0xfffeffff, s61                             // 000000008654: 863D3DFF FFFEFFFF
	v_cndmask_b32_e64 v57, v57, v178, s[60:61]                 // 00000000865C: D1000039 00F36539
	s_lshl_b32 s60, s60, 1                                     // 000000008664: 8E3C813C
	s_lshl_b32 s61, s61, 1                                     // 000000008668: 8E3D813D
	s_and_b32 s60, 0xfffeffff, s60                             // 00000000866C: 863C3CFF FFFEFFFF
	s_and_b32 s61, 0xfffeffff, s61                             // 000000008674: 863D3DFF FFFEFFFF
	v_cndmask_b32_e64 v58, v58, v178, s[60:61]                 // 00000000867C: D100003A 00F3653A
	s_lshl_b32 s60, s60, 1                                     // 000000008684: 8E3C813C
	s_lshl_b32 s61, s61, 1                                     // 000000008688: 8E3D813D
	s_and_b32 s60, 0xfffeffff, s60                             // 00000000868C: 863C3CFF FFFEFFFF
	s_and_b32 s61, 0xfffeffff, s61                             // 000000008694: 863D3DFF FFFEFFFF
	v_cndmask_b32_e64 v59, v59, v178, s[60:61]                 // 00000000869C: D100003B 00F3653B
	s_branch label_11DC                                        // 0000000086A4: BF820020

00000000000086a8 <label_11BC>:
	v_mov_b32_e32 v56, v178                                    // 0000000086A8: 7E7003B2
	v_mov_b32_e32 v57, v178                                    // 0000000086AC: 7E7203B2
	v_mov_b32_e32 v58, v178                                    // 0000000086B0: 7E7403B2
	v_mov_b32_e32 v59, v178                                    // 0000000086B4: 7E7603B2
	s_branch label_11DC                                        // 0000000086B8: BF82001B

00000000000086bc <label_11C1>:
	v_cndmask_b32_e64 v60, v60, v178, s[60:61]                 // 0000000086BC: D100003C 00F3653C
	s_lshl_b32 s60, s60, 1                                     // 0000000086C4: 8E3C813C
	s_lshl_b32 s61, s61, 1                                     // 0000000086C8: 8E3D813D
	s_and_b32 s60, 0xfffeffff, s60                             // 0000000086CC: 863C3CFF FFFEFFFF
	s_and_b32 s61, 0xfffeffff, s61                             // 0000000086D4: 863D3DFF FFFEFFFF
	v_cndmask_b32_e64 v61, v61, v178, s[60:61]                 // 0000000086DC: D100003D 00F3653D
	s_lshl_b32 s60, s60, 1                                     // 0000000086E4: 8E3C813C
	s_lshl_b32 s61, s61, 1                                     // 0000000086E8: 8E3D813D
	s_and_b32 s60, 0xfffeffff, s60                             // 0000000086EC: 863C3CFF FFFEFFFF
	s_and_b32 s61, 0xfffeffff, s61                             // 0000000086F4: 863D3DFF FFFEFFFF
	v_cndmask_b32_e64 v62, v62, v178, s[60:61]                 // 0000000086FC: D100003E 00F3653E
	s_lshl_b32 s60, s60, 1                                     // 000000008704: 8E3C813C
	s_lshl_b32 s61, s61, 1                                     // 000000008708: 8E3D813D
	s_and_b32 s60, 0xfffeffff, s60                             // 00000000870C: 863C3CFF FFFEFFFF
	s_and_b32 s61, 0xfffeffff, s61                             // 000000008714: 863D3DFF FFFEFFFF
	v_cndmask_b32_e64 v63, v63, v178, s[60:61]                 // 00000000871C: D100003F 00F3653F
	s_branch label_11E1                                        // 000000008724: BF820005

0000000000008728 <label_11DC>:
	v_mov_b32_e32 v60, v178                                    // 000000008728: 7E7803B2
	v_mov_b32_e32 v61, v178                                    // 00000000872C: 7E7A03B2
	v_mov_b32_e32 v62, v178                                    // 000000008730: 7E7C03B2
	v_mov_b32_e32 v63, v178                                    // 000000008734: 7E7E03B2
	s_branch label_11E1                                        // 000000008738: BF820000

000000000000873c <label_11E1>:
	s_addk_i32 s74, 0x1                                        // 00000000873C: B74A0001
	s_add_u32 s62, 0, s46                                      // 000000008740: 803E2E80
	s_cmp_lt_i32 s74, s62                                      // 000000008744: BF043E4A
	s_cbranch_scc1 label_120D                                  // 000000008748: BF850028
	s_cmp_eq_i32 s74, s62                                      // 00000000874C: BF003E4A
	s_cbranch_scc1 label_11F2                                  // 000000008750: BF85000B
	s_add_u32 s62, 4, s46                                      // 000000008754: 803E2E84
	s_cmp_lt_i32 s74, s62                                      // 000000008758: BF043E4A
	s_cbranch_scc1 label_122D                                  // 00000000875C: BF850043
	s_cmp_eq_i32 s74, s62                                      // 000000008760: BF003E4A
	s_cbranch_scc1 label_1212                                  // 000000008764: BF850026
	s_add_u32 s62, 8, s46                                      // 000000008768: 803E2E88
	s_cmp_lt_i32 s74, s62                                      // 00000000876C: BF043E4A
	s_cbranch_scc1 label_124D                                  // 000000008770: BF85005E
	s_cmp_eq_i32 s74, s62                                      // 000000008774: BF003E4A
	s_cbranch_scc1 label_1232                                  // 000000008778: BF850041
	s_branch label_1252                                        // 00000000877C: BF820060

0000000000008780 <label_11F2>:
	v_cndmask_b32_e64 v64, v64, v178, s[60:61]                 // 000000008780: D1000040 00F36540
	s_lshl_b32 s60, s60, 1                                     // 000000008788: 8E3C813C
	s_lshl_b32 s61, s61, 1                                     // 00000000878C: 8E3D813D
	s_and_b32 s60, 0xfffeffff, s60                             // 000000008790: 863C3CFF FFFEFFFF
	s_and_b32 s61, 0xfffeffff, s61                             // 000000008798: 863D3DFF FFFEFFFF
	v_cndmask_b32_e64 v65, v65, v178, s[60:61]                 // 0000000087A0: D1000041 00F36541
	s_lshl_b32 s60, s60, 1                                     // 0000000087A8: 8E3C813C
	s_lshl_b32 s61, s61, 1                                     // 0000000087AC: 8E3D813D
	s_and_b32 s60, 0xfffeffff, s60                             // 0000000087B0: 863C3CFF FFFEFFFF
	s_and_b32 s61, 0xfffeffff, s61                             // 0000000087B8: 863D3DFF FFFEFFFF
	v_cndmask_b32_e64 v66, v66, v178, s[60:61]                 // 0000000087C0: D1000042 00F36542
	s_lshl_b32 s60, s60, 1                                     // 0000000087C8: 8E3C813C
	s_lshl_b32 s61, s61, 1                                     // 0000000087CC: 8E3D813D
	s_and_b32 s60, 0xfffeffff, s60                             // 0000000087D0: 863C3CFF FFFEFFFF
	s_and_b32 s61, 0xfffeffff, s61                             // 0000000087D8: 863D3DFF FFFEFFFF
	v_cndmask_b32_e64 v67, v67, v178, s[60:61]                 // 0000000087E0: D1000043 00F36543
	s_branch label_122D                                        // 0000000087E8: BF820020

00000000000087ec <label_120D>:
	v_mov_b32_e32 v64, v178                                    // 0000000087EC: 7E8003B2
	v_mov_b32_e32 v65, v178                                    // 0000000087F0: 7E8203B2
	v_mov_b32_e32 v66, v178                                    // 0000000087F4: 7E8403B2
	v_mov_b32_e32 v67, v178                                    // 0000000087F8: 7E8603B2
	s_branch label_122D                                        // 0000000087FC: BF82001B

0000000000008800 <label_1212>:
	v_cndmask_b32_e64 v68, v68, v178, s[60:61]                 // 000000008800: D1000044 00F36544
	s_lshl_b32 s60, s60, 1                                     // 000000008808: 8E3C813C
	s_lshl_b32 s61, s61, 1                                     // 00000000880C: 8E3D813D
	s_and_b32 s60, 0xfffeffff, s60                             // 000000008810: 863C3CFF FFFEFFFF
	s_and_b32 s61, 0xfffeffff, s61                             // 000000008818: 863D3DFF FFFEFFFF
	v_cndmask_b32_e64 v69, v69, v178, s[60:61]                 // 000000008820: D1000045 00F36545
	s_lshl_b32 s60, s60, 1                                     // 000000008828: 8E3C813C
	s_lshl_b32 s61, s61, 1                                     // 00000000882C: 8E3D813D
	s_and_b32 s60, 0xfffeffff, s60                             // 000000008830: 863C3CFF FFFEFFFF
	s_and_b32 s61, 0xfffeffff, s61                             // 000000008838: 863D3DFF FFFEFFFF
	v_cndmask_b32_e64 v70, v70, v178, s[60:61]                 // 000000008840: D1000046 00F36546
	s_lshl_b32 s60, s60, 1                                     // 000000008848: 8E3C813C
	s_lshl_b32 s61, s61, 1                                     // 00000000884C: 8E3D813D
	s_and_b32 s60, 0xfffeffff, s60                             // 000000008850: 863C3CFF FFFEFFFF
	s_and_b32 s61, 0xfffeffff, s61                             // 000000008858: 863D3DFF FFFEFFFF
	v_cndmask_b32_e64 v71, v71, v178, s[60:61]                 // 000000008860: D1000047 00F36547
	s_branch label_124D                                        // 000000008868: BF820020

000000000000886c <label_122D>:
	v_mov_b32_e32 v68, v178                                    // 00000000886C: 7E8803B2
	v_mov_b32_e32 v69, v178                                    // 000000008870: 7E8A03B2
	v_mov_b32_e32 v70, v178                                    // 000000008874: 7E8C03B2
	v_mov_b32_e32 v71, v178                                    // 000000008878: 7E8E03B2
	s_branch label_124D                                        // 00000000887C: BF82001B

0000000000008880 <label_1232>:
	v_cndmask_b32_e64 v72, v72, v178, s[60:61]                 // 000000008880: D1000048 00F36548
	s_lshl_b32 s60, s60, 1                                     // 000000008888: 8E3C813C
	s_lshl_b32 s61, s61, 1                                     // 00000000888C: 8E3D813D
	s_and_b32 s60, 0xfffeffff, s60                             // 000000008890: 863C3CFF FFFEFFFF
	s_and_b32 s61, 0xfffeffff, s61                             // 000000008898: 863D3DFF FFFEFFFF
	v_cndmask_b32_e64 v73, v73, v178, s[60:61]                 // 0000000088A0: D1000049 00F36549
	s_lshl_b32 s60, s60, 1                                     // 0000000088A8: 8E3C813C
	s_lshl_b32 s61, s61, 1                                     // 0000000088AC: 8E3D813D
	s_and_b32 s60, 0xfffeffff, s60                             // 0000000088B0: 863C3CFF FFFEFFFF
	s_and_b32 s61, 0xfffeffff, s61                             // 0000000088B8: 863D3DFF FFFEFFFF
	v_cndmask_b32_e64 v74, v74, v178, s[60:61]                 // 0000000088C0: D100004A 00F3654A
	s_lshl_b32 s60, s60, 1                                     // 0000000088C8: 8E3C813C
	s_lshl_b32 s61, s61, 1                                     // 0000000088CC: 8E3D813D
	s_and_b32 s60, 0xfffeffff, s60                             // 0000000088D0: 863C3CFF FFFEFFFF
	s_and_b32 s61, 0xfffeffff, s61                             // 0000000088D8: 863D3DFF FFFEFFFF
	v_cndmask_b32_e64 v75, v75, v178, s[60:61]                 // 0000000088E0: D100004B 00F3654B
	s_branch label_1252                                        // 0000000088E8: BF820005

00000000000088ec <label_124D>:
	v_mov_b32_e32 v72, v178                                    // 0000000088EC: 7E9003B2
	v_mov_b32_e32 v73, v178                                    // 0000000088F0: 7E9203B2
	v_mov_b32_e32 v74, v178                                    // 0000000088F4: 7E9403B2
	v_mov_b32_e32 v75, v178                                    // 0000000088F8: 7E9603B2
	s_branch label_1252                                        // 0000000088FC: BF820000

0000000000008900 <label_1252>:
	s_cmp_lt_i32 s84, 0xc0                                     // 000000008900: BF04FF54 000000C0
	s_cbranch_scc0 label_12CB                                  // 000000008908: BF84006D
	s_cmp_le_i32 s84, 64                                       // 00000000890C: BF05C054
	s_cbranch_scc1 label_125E                                  // 000000008910: BF850007
	s_cmp_le_i32 s84, 0x80                                     // 000000008914: BF05FF54 00000080
	s_cbranch_scc1 label_1282                                  // 00000000891C: BF85001F
	s_cmp_lt_i32 s84, 0xc0                                     // 000000008920: BF04FF54 000000C0
	s_cbranch_scc1 label_12A6                                  // 000000008928: BF850040
	s_branch label_12CB                                        // 00000000892C: BF820064

0000000000008930 <label_125E>:
	s_mov_b32 s60, 0                                           // 000000008930: BEBC0080
	v_and_b32_e32 v32, 15, v0                                  // 000000008934: 2640008F
	v_add_u32_e64 v32, v32, s60                                // 000000008938: D1340020 00007920
	v_mul_i32_i24_e64 v33, s46, 16                             // 000000008940: D1060021 0001202E
	v_add_u32_e32 v32, v32, v33                                // 000000008948: 68404320
	v_cmp_lt_u32_e64 s[60:61], v32, s84                        // 00000000894C: D0C9003C 0000A920
	s_nop 1                                                    // 000000008954: BF800001
	v_cndmask_b32_e64 v52, v178, v52, s[60:61]                 // 000000008958: D1000034 00F269B2
	v_cndmask_b32_e64 v64, v178, v64, s[60:61]                 // 000000008960: D1000040 00F281B2
	v_cndmask_b32_e64 v53, v178, v53, s[60:61]                 // 000000008968: D1000035 00F26BB2
	v_cndmask_b32_e64 v65, v178, v65, s[60:61]                 // 000000008970: D1000041 00F283B2
	v_cndmask_b32_e64 v54, v178, v54, s[60:61]                 // 000000008978: D1000036 00F26DB2
	v_cndmask_b32_e64 v66, v178, v66, s[60:61]                 // 000000008980: D1000042 00F285B2
	v_cndmask_b32_e64 v55, v178, v55, s[60:61]                 // 000000008988: D1000037 00F26FB2
	v_cndmask_b32_e64 v67, v178, v67, s[60:61]                 // 000000008990: D1000043 00F287B2
	s_branch label_129D                                        // 000000008998: BF82001B

000000000000899c <label_1282>:
	s_mov_b32 s60, 64                                          // 00000000899C: BEBC00C0
	v_and_b32_e32 v32, 15, v0                                  // 0000000089A0: 2640008F
	v_add_u32_e64 v32, v32, s60                                // 0000000089A4: D1340020 00007920
	v_mul_i32_i24_e64 v33, s46, 16                             // 0000000089AC: D1060021 0001202E
	v_add_u32_e32 v32, v32, v33                                // 0000000089B4: 68404320
	v_cmp_lt_u32_e64 s[60:61], v32, s84                        // 0000000089B8: D0C9003C 0000A920
	s_nop 1                                                    // 0000000089C0: BF800001
	v_cndmask_b32_e64 v56, v178, v56, s[60:61]                 // 0000000089C4: D1000038 00F271B2
	v_cndmask_b32_e64 v68, v178, v68, s[60:61]                 // 0000000089CC: D1000044 00F289B2
	v_cndmask_b32_e64 v57, v178, v57, s[60:61]                 // 0000000089D4: D1000039 00F273B2
	v_cndmask_b32_e64 v69, v178, v69, s[60:61]                 // 0000000089DC: D1000045 00F28BB2
	v_cndmask_b32_e64 v58, v178, v58, s[60:61]                 // 0000000089E4: D100003A 00F275B2
	v_cndmask_b32_e64 v70, v178, v70, s[60:61]                 // 0000000089EC: D1000046 00F28DB2
	v_cndmask_b32_e64 v59, v178, v59, s[60:61]                 // 0000000089F4: D100003B 00F277B2
	v_cndmask_b32_e64 v71, v178, v71, s[60:61]                 // 0000000089FC: D1000047 00F28FB2
	s_branch label_12C2                                        // 000000008A04: BF820025

0000000000008a08 <label_129D>:
	v_mov_b32_e32 v56, v178                                    // 000000008A08: 7E7003B2
	v_mov_b32_e32 v68, v178                                    // 000000008A0C: 7E8803B2
	v_mov_b32_e32 v57, v178                                    // 000000008A10: 7E7203B2
	v_mov_b32_e32 v69, v178                                    // 000000008A14: 7E8A03B2
	v_mov_b32_e32 v58, v178                                    // 000000008A18: 7E7403B2
	v_mov_b32_e32 v70, v178                                    // 000000008A1C: 7E8C03B2
	v_mov_b32_e32 v59, v178                                    // 000000008A20: 7E7603B2
	v_mov_b32_e32 v71, v178                                    // 000000008A24: 7E8E03B2
	s_branch label_12C2                                        // 000000008A28: BF82001C

0000000000008a2c <label_12A6>:
	s_mov_b32 s60, 0x80                                        // 000000008A2C: BEBC00FF 00000080
	v_and_b32_e32 v32, 15, v0                                  // 000000008A34: 2640008F
	v_add_u32_e64 v32, v32, s60                                // 000000008A38: D1340020 00007920
	v_mul_i32_i24_e64 v33, s46, 16                             // 000000008A40: D1060021 0001202E
	v_add_u32_e32 v32, v32, v33                                // 000000008A48: 68404320
	v_cmp_lt_u32_e64 s[60:61], v32, s84                        // 000000008A4C: D0C9003C 0000A920
	s_nop 1                                                    // 000000008A54: BF800001
	v_cndmask_b32_e64 v60, v178, v60, s[60:61]                 // 000000008A58: D100003C 00F279B2
	v_cndmask_b32_e64 v72, v178, v72, s[60:61]                 // 000000008A60: D1000048 00F291B2
	v_cndmask_b32_e64 v61, v178, v61, s[60:61]                 // 000000008A68: D100003D 00F27BB2
	v_cndmask_b32_e64 v73, v178, v73, s[60:61]                 // 000000008A70: D1000049 00F293B2
	v_cndmask_b32_e64 v62, v178, v62, s[60:61]                 // 000000008A78: D100003E 00F27DB2
	v_cndmask_b32_e64 v74, v178, v74, s[60:61]                 // 000000008A80: D100004A 00F295B2
	v_cndmask_b32_e64 v63, v178, v63, s[60:61]                 // 000000008A88: D100003F 00F27FB2
	v_cndmask_b32_e64 v75, v178, v75, s[60:61]                 // 000000008A90: D100004B 00F297B2
	s_branch label_12CB                                        // 000000008A98: BF820009

0000000000008a9c <label_12C2>:
	v_mov_b32_e32 v60, v178                                    // 000000008A9C: 7E7803B2
	v_mov_b32_e32 v72, v178                                    // 000000008AA0: 7E9003B2
	v_mov_b32_e32 v61, v178                                    // 000000008AA4: 7E7A03B2
	v_mov_b32_e32 v73, v178                                    // 000000008AA8: 7E9203B2
	v_mov_b32_e32 v62, v178                                    // 000000008AAC: 7E7C03B2
	v_mov_b32_e32 v74, v178                                    // 000000008AB0: 7E9403B2
	v_mov_b32_e32 v63, v178                                    // 000000008AB4: 7E7E03B2
	v_mov_b32_e32 v75, v178                                    // 000000008AB8: 7E9603B2
	s_branch label_12CB                                        // 000000008ABC: BF820000

0000000000008ac0 <label_12CB>:
	s_addk_i32 s74, 0x1                                        // 000000008AC0: B74A0001
	s_waitcnt lgkmcnt(8)                                       // 000000008AC4: BF8CC87F
	s_barrier                                                  // 000000008AC8: BF8A0000
	v_mfma_f32_16x16x16_bf16 v[76:79], v[108:109], a[72:73], 0 // 000000008ACC: D3E1004C 1202916C
	v_fma_f32 v52, v52, s57, -v140                             // 000000008AD4: D1CB0034 86307334
	v_fma_f32 v53, v53, s57, -v141                             // 000000008ADC: D1CB0035 86347335
	v_fma_f32 v54, v54, s57, -v142                             // 000000008AE4: D1CB0036 86387336
	v_fma_f32 v55, v55, s57, -v143                             // 000000008AEC: D1CB0037 863C7337
	v_fma_f32 v56, v56, s57, -v140                             // 000000008AF4: D1CB0038 86307338
	v_fma_f32 v57, v57, s57, -v141                             // 000000008AFC: D1CB0039 86347339
	v_mfma_f32_16x16x16_bf16 v[76:79], v[110:111], a[74:75], v[76:79]// 000000008B04: D3E1004C 1532956E
	ds_read_b128 a[96:99], v14 offset:4352                     // 000000008B0C: DBFE1100 6000000E
	ds_read_b128 a[100:103], v14 offset:4864                   // 000000008B14: DBFE1300 6400000E
	v_mfma_f32_16x16x16_bf16 v[76:79], v[112:113], a[76:77], v[76:79]// 000000008B1C: D3E1004C 15329970
	v_fma_f32 v58, v58, s57, -v142                             // 000000008B24: D1CB003A 8638733A
	v_fma_f32 v59, v59, s57, -v143                             // 000000008B2C: D1CB003B 863C733B
	v_fma_f32 v60, v60, s57, -v140                             // 000000008B34: D1CB003C 8630733C
	v_fma_f32 v61, v61, s57, -v141                             // 000000008B3C: D1CB003D 8634733D
	v_fma_f32 v62, v62, s57, -v142                             // 000000008B44: D1CB003E 8638733E
	v_fma_f32 v63, v63, s57, -v143                             // 000000008B4C: D1CB003F 863C733F
	v_mfma_f32_16x16x16_bf16 v[76:79], v[114:115], a[78:79], v[76:79]// 000000008B54: D3E1004C 15329D72
	v_fma_f32 v64, v64, s57, -v144                             // 000000008B5C: D1CB0040 86407340
	v_fma_f32 v65, v65, s57, -v145                             // 000000008B64: D1CB0041 86447341
	v_fma_f32 v66, v66, s57, -v146                             // 000000008B6C: D1CB0042 86487342
	v_fma_f32 v67, v67, s57, -v147                             // 000000008B74: D1CB0043 864C7343
	v_fma_f32 v68, v68, s57, -v144                             // 000000008B7C: D1CB0044 86407344
	v_fma_f32 v69, v69, s57, -v145                             // 000000008B84: D1CB0045 86447345
	v_mfma_f32_16x16x16_bf16 v[80:83], v[108:109], a[80:81], 0 // 000000008B8C: D3E10050 1202A16C
	v_fma_f32 v70, v70, s57, -v146                             // 000000008B94: D1CB0046 86487346
	v_fma_f32 v71, v71, s57, -v147                             // 000000008B9C: D1CB0047 864C7347
	v_fma_f32 v72, v72, s57, -v144                             // 000000008BA4: D1CB0048 86407348
	v_fma_f32 v73, v73, s57, -v145                             // 000000008BAC: D1CB0049 86447349
	v_fma_f32 v74, v74, s57, -v146                             // 000000008BB4: D1CB004A 8648734A
	v_fma_f32 v75, v75, s57, -v147                             // 000000008BBC: D1CB004B 864C734B
	v_mfma_f32_16x16x16_bf16 v[80:83], v[110:111], a[82:83], v[80:83]// 000000008BC4: D3E10050 1542A56E
	ds_read_b128 a[104:107], v14 offset:6528                   // 000000008BCC: DBFE1980 6800000E
	ds_read_b128 a[108:111], v14 offset:7040                   // 000000008BD4: DBFE1B80 6C00000E
	v_mfma_f32_16x16x16_bf16 v[80:83], v[112:113], a[84:85], v[80:83]// 000000008BDC: D3E10050 1542A970
	v_exp_f32_e32 v52, v52                                     // 000000008BE4: 7E684134
	v_exp_f32_e32 v53, v53                                     // 000000008BE8: 7E6A4135
	v_mfma_f32_16x16x16_bf16 v[80:83], v[114:115], a[86:87], v[80:83]// 000000008BEC: D3E10050 1542AD72
	v_exp_f32_e32 v54, v54                                     // 000000008BF4: 7E6C4136
	v_exp_f32_e32 v55, v55                                     // 000000008BF8: 7E6E4137
	v_mfma_f32_16x16x16_bf16 v[84:87], v[108:109], a[88:89], 0 // 000000008BFC: D3E10054 1202B16C
	v_exp_f32_e32 v56, v56                                     // 000000008C04: 7E704138
	v_exp_f32_e32 v57, v57                                     // 000000008C08: 7E724139
	v_mfma_f32_16x16x16_bf16 v[84:87], v[110:111], a[90:91], v[84:87]// 000000008C0C: D3E10054 1552B56E
	ds_read_b64 v[156:157], v21 offset:31232                   // 000000008C14: D8EC7A00 9C000015
	ds_read_b64 v[158:159], v21 offset:33280                   // 000000008C1C: D8EC8200 9E000015
	v_mfma_f32_16x16x16_bf16 v[84:87], v[112:113], a[92:93], v[84:87]// 000000008C24: D3E10054 1552B970
	v_exp_f32_e32 v58, v58                                     // 000000008C2C: 7E74413A
	v_exp_f32_e32 v59, v59                                     // 000000008C30: 7E76413B
	v_mfma_f32_16x16x16_bf16 v[84:87], v[114:115], a[94:95], v[84:87]// 000000008C34: D3E10054 1552BD72
	ds_read_b64 v[160:161], v21 offset:35328                   // 000000008C3C: D8EC8A00 A0000015
	ds_read_b64 v[162:163], v21 offset:37376                   // 000000008C44: D8EC9200 A2000015
	v_mfma_f32_16x16x16_bf16 v[88:91], v[116:117], a[72:73], 0 // 000000008C4C: D3E10058 12029174
	v_exp_f32_e32 v60, v60                                     // 000000008C54: 7E78413C
	v_exp_f32_e32 v61, v61                                     // 000000008C58: 7E7A413D
	v_mfma_f32_16x16x16_bf16 v[88:91], v[118:119], a[74:75], v[88:91]// 000000008C5C: D3E10058 15629576
	v_exp_f32_e32 v62, v62                                     // 000000008C64: 7E7C413E
	v_exp_f32_e32 v63, v63                                     // 000000008C68: 7E7E413F
	v_mfma_f32_16x16x16_bf16 v[88:91], v[120:121], a[76:77], v[88:91]// 000000008C6C: D3E10058 15629978
	v_exp_f32_e32 v64, v64                                     // 000000008C74: 7E804140
	v_exp_f32_e32 v65, v65                                     // 000000008C78: 7E824141
	v_mfma_f32_16x16x16_bf16 v[88:91], v[122:123], a[78:79], v[88:91]// 000000008C7C: D3E10058 15629D7A
	v_exp_f32_e32 v66, v66                                     // 000000008C84: 7E844142
	v_exp_f32_e32 v67, v67                                     // 000000008C88: 7E864143
	v_mfma_f32_16x16x16_bf16 v[92:95], v[116:117], a[80:81], 0 // 000000008C8C: D3E1005C 1202A174
	v_exp_f32_e32 v68, v68                                     // 000000008C94: 7E884144
	v_exp_f32_e32 v69, v69                                     // 000000008C98: 7E8A4145
	v_mfma_f32_16x16x16_bf16 v[92:95], v[118:119], a[82:83], v[92:95]// 000000008C9C: D3E1005C 1572A576
	v_exp_f32_e32 v70, v70                                     // 000000008CA4: 7E8C4146
	v_exp_f32_e32 v71, v71                                     // 000000008CA8: 7E8E4147
	v_mfma_f32_16x16x16_bf16 v[92:95], v[120:121], a[84:85], v[92:95]// 000000008CAC: D3E1005C 1572A978
	v_exp_f32_e32 v72, v72                                     // 000000008CB4: 7E904148
	v_exp_f32_e32 v73, v73                                     // 000000008CB8: 7E924149
	v_mfma_f32_16x16x16_bf16 v[92:95], v[122:123], a[86:87], v[92:95]// 000000008CBC: D3E1005C 1572AD7A
	v_exp_f32_e32 v74, v74                                     // 000000008CC4: 7E94414A
	v_exp_f32_e32 v75, v75                                     // 000000008CC8: 7E96414B
	v_mfma_f32_16x16x16_bf16 v[96:99], v[116:117], a[88:89], 0 // 000000008CCC: D3E10060 1202B174
	v_cmp_u_f32_e64 s[78:79], v52, v52                         // 000000008CD4: D048004E 00026934
	v_add3_u32 v228, v52, v231, 1                              // 000000008CDC: D1FF00E4 0207CF34
	v_cndmask_b32_e64 v32, v228, v230, s[78:79]                // 000000008CE4: D1000020 013BCDE4
	v_cmp_u_f32_e64 s[78:79], v53, v53                         // 000000008CEC: D048004E 00026B35
	v_add3_u32 v228, v53, v231, 1                              // 000000008CF4: D1FF00E4 0207CF35
	v_cndmask_b32_e64 v33, v228, v230, s[78:79]                // 000000008CFC: D1000021 013BCDE4
	v_perm_b32 v164, v33, v32, s64                             // 000000008D04: D1ED00A4 01024121
	v_cmp_u_f32_e64 s[78:79], v54, v54                         // 000000008D0C: D048004E 00026D36
	v_add3_u32 v228, v54, v231, 1                              // 000000008D14: D1FF00E4 0207CF36
	v_cndmask_b32_e64 v32, v228, v230, s[78:79]                // 000000008D1C: D1000020 013BCDE4
	v_cmp_u_f32_e64 s[78:79], v55, v55                         // 000000008D24: D048004E 00026F37
	v_add3_u32 v228, v55, v231, 1                              // 000000008D2C: D1FF00E4 0207CF37
	v_cndmask_b32_e64 v33, v228, v230, s[78:79]                // 000000008D34: D1000021 013BCDE4
	v_perm_b32 v165, v33, v32, s64                             // 000000008D3C: D1ED00A5 01024121
	v_cmp_u_f32_e64 s[78:79], v56, v56                         // 000000008D44: D048004E 00027138
	v_add3_u32 v228, v56, v231, 1                              // 000000008D4C: D1FF00E4 0207CF38
	v_cndmask_b32_e64 v32, v228, v230, s[78:79]                // 000000008D54: D1000020 013BCDE4
	v_cmp_u_f32_e64 s[78:79], v57, v57                         // 000000008D5C: D048004E 00027339
	v_add3_u32 v228, v57, v231, 1                              // 000000008D64: D1FF00E4 0207CF39
	v_cndmask_b32_e64 v33, v228, v230, s[78:79]                // 000000008D6C: D1000021 013BCDE4
	v_perm_b32 v166, v33, v32, s64                             // 000000008D74: D1ED00A6 01024121
	v_cmp_u_f32_e64 s[78:79], v58, v58                         // 000000008D7C: D048004E 0002753A
	v_add3_u32 v228, v58, v231, 1                              // 000000008D84: D1FF00E4 0207CF3A
	v_cndmask_b32_e64 v32, v228, v230, s[78:79]                // 000000008D8C: D1000020 013BCDE4
	v_cmp_u_f32_e64 s[78:79], v59, v59                         // 000000008D94: D048004E 0002773B
	v_add3_u32 v228, v59, v231, 1                              // 000000008D9C: D1FF00E4 0207CF3B
	v_cndmask_b32_e64 v33, v228, v230, s[78:79]                // 000000008DA4: D1000021 013BCDE4
	v_perm_b32 v167, v33, v32, s64                             // 000000008DAC: D1ED00A7 01024121
	v_cmp_u_f32_e64 s[78:79], v60, v60                         // 000000008DB4: D048004E 0002793C
	v_add3_u32 v228, v60, v231, 1                              // 000000008DBC: D1FF00E4 0207CF3C
	v_cndmask_b32_e64 v32, v228, v230, s[78:79]                // 000000008DC4: D1000020 013BCDE4
	v_cmp_u_f32_e64 s[78:79], v61, v61                         // 000000008DCC: D048004E 00027B3D
	v_add3_u32 v228, v61, v231, 1                              // 000000008DD4: D1FF00E4 0207CF3D
	v_cndmask_b32_e64 v33, v228, v230, s[78:79]                // 000000008DDC: D1000021 013BCDE4
	v_perm_b32 v168, v33, v32, s64                             // 000000008DE4: D1ED00A8 01024121
	v_cmp_u_f32_e64 s[78:79], v62, v62                         // 000000008DEC: D048004E 00027D3E
	v_add3_u32 v228, v62, v231, 1                              // 000000008DF4: D1FF00E4 0207CF3E
	v_cndmask_b32_e64 v32, v228, v230, s[78:79]                // 000000008DFC: D1000020 013BCDE4
	v_cmp_u_f32_e64 s[78:79], v63, v63                         // 000000008E04: D048004E 00027F3F
	v_add3_u32 v228, v63, v231, 1                              // 000000008E0C: D1FF00E4 0207CF3F
	v_cndmask_b32_e64 v33, v228, v230, s[78:79]                // 000000008E14: D1000021 013BCDE4
	v_perm_b32 v169, v33, v32, s64                             // 000000008E1C: D1ED00A9 01024121
	v_mfma_f32_16x16x16_bf16 v[96:99], v[118:119], a[90:91], v[96:99]// 000000008E24: D3E10060 1582B576
	v_cmp_u_f32_e64 s[78:79], v64, v64                         // 000000008E2C: D048004E 00028140
	v_add3_u32 v228, v64, v231, 1                              // 000000008E34: D1FF00E4 0207CF40
	v_cndmask_b32_e64 v32, v228, v230, s[78:79]                // 000000008E3C: D1000020 013BCDE4
	v_cmp_u_f32_e64 s[78:79], v65, v65                         // 000000008E44: D048004E 00028341
	v_add3_u32 v228, v65, v231, 1                              // 000000008E4C: D1FF00E4 0207CF41
	v_cndmask_b32_e64 v33, v228, v230, s[78:79]                // 000000008E54: D1000021 013BCDE4
	v_perm_b32 v170, v33, v32, s64                             // 000000008E5C: D1ED00AA 01024121
	v_cmp_u_f32_e64 s[78:79], v66, v66                         // 000000008E64: D048004E 00028542
	v_add3_u32 v228, v66, v231, 1                              // 000000008E6C: D1FF00E4 0207CF42
	v_cndmask_b32_e64 v32, v228, v230, s[78:79]                // 000000008E74: D1000020 013BCDE4
	v_cmp_u_f32_e64 s[78:79], v67, v67                         // 000000008E7C: D048004E 00028743
	v_add3_u32 v228, v67, v231, 1                              // 000000008E84: D1FF00E4 0207CF43
	v_cndmask_b32_e64 v33, v228, v230, s[78:79]                // 000000008E8C: D1000021 013BCDE4
	v_perm_b32 v171, v33, v32, s64                             // 000000008E94: D1ED00AB 01024121
	v_cmp_u_f32_e64 s[78:79], v68, v68                         // 000000008E9C: D048004E 00028944
	v_add3_u32 v228, v68, v231, 1                              // 000000008EA4: D1FF00E4 0207CF44
	v_cndmask_b32_e64 v32, v228, v230, s[78:79]                // 000000008EAC: D1000020 013BCDE4
	v_cmp_u_f32_e64 s[78:79], v69, v69                         // 000000008EB4: D048004E 00028B45
	v_add3_u32 v228, v69, v231, 1                              // 000000008EBC: D1FF00E4 0207CF45
	v_cndmask_b32_e64 v33, v228, v230, s[78:79]                // 000000008EC4: D1000021 013BCDE4
	v_perm_b32 v172, v33, v32, s64                             // 000000008ECC: D1ED00AC 01024121
	v_cmp_u_f32_e64 s[78:79], v70, v70                         // 000000008ED4: D048004E 00028D46
	v_add3_u32 v228, v70, v231, 1                              // 000000008EDC: D1FF00E4 0207CF46
	v_cndmask_b32_e64 v32, v228, v230, s[78:79]                // 000000008EE4: D1000020 013BCDE4
	v_cmp_u_f32_e64 s[78:79], v71, v71                         // 000000008EEC: D048004E 00028F47
	v_add3_u32 v228, v71, v231, 1                              // 000000008EF4: D1FF00E4 0207CF47
	v_cndmask_b32_e64 v33, v228, v230, s[78:79]                // 000000008EFC: D1000021 013BCDE4
	v_perm_b32 v173, v33, v32, s64                             // 000000008F04: D1ED00AD 01024121
	v_cmp_u_f32_e64 s[78:79], v72, v72                         // 000000008F0C: D048004E 00029148
	v_add3_u32 v228, v72, v231, 1                              // 000000008F14: D1FF00E4 0207CF48
	v_cndmask_b32_e64 v32, v228, v230, s[78:79]                // 000000008F1C: D1000020 013BCDE4
	v_cmp_u_f32_e64 s[78:79], v73, v73                         // 000000008F24: D048004E 00029349
	v_add3_u32 v228, v73, v231, 1                              // 000000008F2C: D1FF00E4 0207CF49
	v_cndmask_b32_e64 v33, v228, v230, s[78:79]                // 000000008F34: D1000021 013BCDE4
	v_perm_b32 v174, v33, v32, s64                             // 000000008F3C: D1ED00AE 01024121
	v_cmp_u_f32_e64 s[78:79], v74, v74                         // 000000008F44: D048004E 0002954A
	v_add3_u32 v228, v74, v231, 1                              // 000000008F4C: D1FF00E4 0207CF4A
	v_cndmask_b32_e64 v32, v228, v230, s[78:79]                // 000000008F54: D1000020 013BCDE4
	v_cmp_u_f32_e64 s[78:79], v75, v75                         // 000000008F5C: D048004E 0002974B
	v_add3_u32 v228, v75, v231, 1                              // 000000008F64: D1FF00E4 0207CF4B
	v_cndmask_b32_e64 v33, v228, v230, s[78:79]                // 000000008F6C: D1000021 013BCDE4
	v_perm_b32 v175, v33, v32, s64                             // 000000008F74: D1ED00AF 01024121
	v_mfma_f32_16x16x16_bf16 v[96:99], v[120:121], a[92:93], v[96:99]// 000000008F7C: D3E10060 1582B978
	v_add_u32_e32 v6, s66, v6                                  // 000000008F84: 680C0C42
	v_add_u32_e32 v7, s66, v7                                  // 000000008F88: 680E0E42
	v_add_u32_e32 v8, s66, v8                                  // 000000008F8C: 68101042
	v_add_u32_e32 v9, s66, v9                                  // 000000008F90: 68121242
	v_mfma_f32_16x16x16_bf16 v[96:99], v[122:123], a[94:95], v[96:99]// 000000008F94: D3E10060 1582BD7A
	s_waitcnt lgkmcnt(0)                                       // 000000008F9C: BF8CC07F
	s_barrier                                                  // 000000008FA0: BF8A0000
	v_mfma_f32_16x16x16_bf16 v[180:183], v[124:125], v[164:165], v[180:183]// 000000008FA4: D3E100B4 06D3497C
	v_subrev_f32_dpp v76, v176, v76 quad_perm:[0,0,0,0] row_mask:0xf bank_mask:0xf// 000000008FAC: 069898FA FF0000B0
	v_subrev_f32_dpp v77, v176, v77 quad_perm:[1,1,1,1] row_mask:0xf bank_mask:0xf// 000000008FB4: 069A9AFA FF0055B0
	v_subrev_f32_dpp v78, v176, v78 quad_perm:[2,2,2,2] row_mask:0xf bank_mask:0xf// 000000008FBC: 069C9CFA FF00AAB0
	v_subrev_f32_dpp v79, v176, v79 quad_perm:[3,3,3,3] row_mask:0xf bank_mask:0xf// 000000008FC4: 069E9EFA FF00FFB0
	v_subrev_f32_dpp v80, v176, v80 quad_perm:[0,0,0,0] row_mask:0xf bank_mask:0xf// 000000008FCC: 06A0A0FA FF0000B0
	v_subrev_f32_dpp v81, v176, v81 quad_perm:[1,1,1,1] row_mask:0xf bank_mask:0xf// 000000008FD4: 06A2A2FA FF0055B0
	v_mfma_f32_16x16x16_bf16 v[184:187], v[126:127], v[164:165], v[184:187]// 000000008FDC: D3E100B8 06E3497E
	v_subrev_f32_dpp v82, v176, v82 quad_perm:[2,2,2,2] row_mask:0xf bank_mask:0xf// 000000008FE4: 06A4A4FA FF00AAB0
	v_subrev_f32_dpp v83, v176, v83 quad_perm:[3,3,3,3] row_mask:0xf bank_mask:0xf// 000000008FEC: 06A6A6FA FF00FFB0
	v_subrev_f32_dpp v84, v176, v84 quad_perm:[0,0,0,0] row_mask:0xf bank_mask:0xf// 000000008FF4: 06A8A8FA FF0000B0
	v_subrev_f32_dpp v85, v176, v85 quad_perm:[1,1,1,1] row_mask:0xf bank_mask:0xf// 000000008FFC: 06AAAAFA FF0055B0
	v_subrev_f32_dpp v86, v176, v86 quad_perm:[2,2,2,2] row_mask:0xf bank_mask:0xf// 000000009004: 06ACACFA FF00AAB0
	v_subrev_f32_dpp v87, v176, v87 quad_perm:[3,3,3,3] row_mask:0xf bank_mask:0xf// 00000000900C: 06AEAEFA FF00FFB0
	v_mfma_f32_16x16x16_bf16 v[188:191], v[128:129], v[164:165], v[188:191]// 000000009014: D3E100BC 06F34980
	v_mul_f32_e32 v76, v52, v76                                // 00000000901C: 0A989934
	v_mul_f32_e32 v77, v53, v77                                // 000000009020: 0A9A9B35
	v_mul_f32_e32 v78, v54, v78                                // 000000009024: 0A9C9D36
	v_mul_f32_e32 v79, v55, v79                                // 000000009028: 0A9E9F37
	v_mul_f32_e32 v80, v56, v80                                // 00000000902C: 0AA0A138
	v_mul_f32_e32 v81, v57, v81                                // 000000009030: 0AA2A339
	v_mfma_f32_16x16x16_bf16 v[192:195], v[130:131], v[164:165], v[192:195]// 000000009034: D3E100C0 07034982
	v_mul_f32_e32 v82, v58, v82                                // 00000000903C: 0AA4A53A
	v_mul_f32_e32 v83, v59, v83                                // 000000009040: 0AA6A73B
	v_mul_f32_e32 v84, v60, v84                                // 000000009044: 0AA8A93C
	v_mul_f32_e32 v85, v61, v85                                // 000000009048: 0AAAAB3D
	v_mul_f32_e32 v86, v62, v86                                // 00000000904C: 0AACAD3E
	v_mul_f32_e32 v87, v63, v87                                // 000000009050: 0AAEAF3F
	v_mfma_f32_16x16x16_bf16 v[196:199], v[124:125], v[166:167], v[196:199]// 000000009054: D3E100C4 07134D7C
	v_cmp_u_f32_e64 s[78:79], v76, v76                         // 00000000905C: D048004E 0002994C
	v_add3_u32 v228, v76, v231, 1                              // 000000009064: D1FF00E4 0207CF4C
	v_cndmask_b32_e64 v32, v228, v230, s[78:79]                // 00000000906C: D1000020 013BCDE4
	v_cmp_u_f32_e64 s[78:79], v77, v77                         // 000000009074: D048004E 00029B4D
	v_add3_u32 v228, v77, v231, 1                              // 00000000907C: D1FF00E4 0207CF4D
	v_cndmask_b32_e64 v33, v228, v230, s[78:79]                // 000000009084: D1000021 013BCDE4
	v_perm_b32 v76, v33, v32, s64                              // 00000000908C: D1ED004C 01024121
	v_cmp_u_f32_e64 s[78:79], v78, v78                         // 000000009094: D048004E 00029D4E
	v_add3_u32 v228, v78, v231, 1                              // 00000000909C: D1FF00E4 0207CF4E
	v_cndmask_b32_e64 v32, v228, v230, s[78:79]                // 0000000090A4: D1000020 013BCDE4
	v_cmp_u_f32_e64 s[78:79], v79, v79                         // 0000000090AC: D048004E 00029F4F
	v_add3_u32 v228, v79, v231, 1                              // 0000000090B4: D1FF00E4 0207CF4F
	v_cndmask_b32_e64 v33, v228, v230, s[78:79]                // 0000000090BC: D1000021 013BCDE4
	v_perm_b32 v77, v33, v32, s64                              // 0000000090C4: D1ED004D 01024121
	v_cmp_u_f32_e64 s[78:79], v80, v80                         // 0000000090CC: D048004E 0002A150
	v_add3_u32 v228, v80, v231, 1                              // 0000000090D4: D1FF00E4 0207CF50
	v_cndmask_b32_e64 v32, v228, v230, s[78:79]                // 0000000090DC: D1000020 013BCDE4
	v_cmp_u_f32_e64 s[78:79], v81, v81                         // 0000000090E4: D048004E 0002A351
	v_add3_u32 v228, v81, v231, 1                              // 0000000090EC: D1FF00E4 0207CF51
	v_cndmask_b32_e64 v33, v228, v230, s[78:79]                // 0000000090F4: D1000021 013BCDE4
	v_perm_b32 v78, v33, v32, s64                              // 0000000090FC: D1ED004E 01024121
	v_cmp_u_f32_e64 s[78:79], v82, v82                         // 000000009104: D048004E 0002A552
	v_add3_u32 v228, v82, v231, 1                              // 00000000910C: D1FF00E4 0207CF52
	v_cndmask_b32_e64 v32, v228, v230, s[78:79]                // 000000009114: D1000020 013BCDE4
	v_cmp_u_f32_e64 s[78:79], v83, v83                         // 00000000911C: D048004E 0002A753
	v_add3_u32 v228, v83, v231, 1                              // 000000009124: D1FF00E4 0207CF53
	v_cndmask_b32_e64 v33, v228, v230, s[78:79]                // 00000000912C: D1000021 013BCDE4
	v_perm_b32 v79, v33, v32, s64                              // 000000009134: D1ED004F 01024121
	v_cmp_u_f32_e64 s[78:79], v84, v84                         // 00000000913C: D048004E 0002A954
	v_add3_u32 v228, v84, v231, 1                              // 000000009144: D1FF00E4 0207CF54
	v_cndmask_b32_e64 v32, v228, v230, s[78:79]                // 00000000914C: D1000020 013BCDE4
	v_cmp_u_f32_e64 s[78:79], v85, v85                         // 000000009154: D048004E 0002AB55
	v_add3_u32 v228, v85, v231, 1                              // 00000000915C: D1FF00E4 0207CF55
	v_cndmask_b32_e64 v33, v228, v230, s[78:79]                // 000000009164: D1000021 013BCDE4
	v_perm_b32 v80, v33, v32, s64                              // 00000000916C: D1ED0050 01024121
	v_cmp_u_f32_e64 s[78:79], v86, v86                         // 000000009174: D048004E 0002AD56
	v_add3_u32 v228, v86, v231, 1                              // 00000000917C: D1FF00E4 0207CF56
	v_cndmask_b32_e64 v32, v228, v230, s[78:79]                // 000000009184: D1000020 013BCDE4
	v_cmp_u_f32_e64 s[78:79], v87, v87                         // 00000000918C: D048004E 0002AF57
	v_add3_u32 v228, v87, v231, 1                              // 000000009194: D1FF00E4 0207CF57
	v_cndmask_b32_e64 v33, v228, v230, s[78:79]                // 00000000919C: D1000021 013BCDE4
	v_perm_b32 v81, v33, v32, s64                              // 0000000091A4: D1ED0051 01024121
	v_mfma_f32_16x16x16_bf16 v[200:203], v[126:127], v[166:167], v[200:203]// 0000000091AC: D3E100C8 07234D7E
	v_mov_b32_dpp v18, v76 quad_perm:[1,0,3,2] row_mask:0xf bank_mask:0xf// 0000000091B4: 7E2402FA FF00B14C
	v_perm_b32 v52, v18, v76, v17                              // 0000000091BC: D1ED0034 04469912
	v_mov_b32_dpp v18, v77 quad_perm:[1,0,3,2] row_mask:0xf bank_mask:0xf// 0000000091C4: 7E2402FA FF00B14D
	v_perm_b32 v53, v18, v77, v17                              // 0000000091CC: D1ED0035 04469B12
	v_mov_b32_dpp v18, v78 quad_perm:[1,0,3,2] row_mask:0xf bank_mask:0xf// 0000000091D4: 7E2402FA FF00B14E
	v_perm_b32 v54, v18, v78, v17                              // 0000000091DC: D1ED0036 04469D12
	v_mfma_f32_16x16x16_bf16 v[204:207], v[128:129], v[166:167], v[204:207]// 0000000091E4: D3E100CC 07334D80
	ds_write_b32 v20, v52 offset:17408                         // 0000000091EC: D81A4400 00003414
	ds_write_b32 v20, v53 offset:17952                         // 0000000091F4: D81A4620 00003514
	v_mfma_f32_16x16x16_bf16 v[208:211], v[130:131], v[166:167], v[208:211]// 0000000091FC: D3E100D0 07434D82
	v_mov_b32_dpp v18, v79 quad_perm:[1,0,3,2] row_mask:0xf bank_mask:0xf// 000000009204: 7E2402FA FF00B14F
	v_perm_b32 v55, v18, v79, v17                              // 00000000920C: D1ED0037 04469F12
	v_mov_b32_dpp v18, v80 quad_perm:[1,0,3,2] row_mask:0xf bank_mask:0xf// 000000009214: 7E2402FA FF00B150
	v_perm_b32 v56, v18, v80, v17                              // 00000000921C: D1ED0038 0446A112
	v_mov_b32_dpp v18, v81 quad_perm:[1,0,3,2] row_mask:0xf bank_mask:0xf// 000000009224: 7E2402FA FF00B151
	v_perm_b32 v57, v18, v81, v17                              // 00000000922C: D1ED0039 0446A312
	v_mfma_f32_16x16x16_bf16 v[212:215], v[124:125], v[168:169], v[212:215]// 000000009234: D3E100D4 0753517C
	ds_write_b32 v20, v54 offset:19712                         // 00000000923C: D81A4D00 00003614
	ds_write_b32 v20, v55 offset:20256                         // 000000009244: D81A4F20 00003714
	v_mfma_f32_16x16x16_bf16 v[216:219], v[126:127], v[168:169], v[216:219]// 00000000924C: D3E100D8 0763517E
	v_subrev_f32_dpp v88, v177, v88 quad_perm:[0,0,0,0] row_mask:0xf bank_mask:0xf// 000000009254: 06B0B0FA FF0000B1
	v_subrev_f32_dpp v89, v177, v89 quad_perm:[1,1,1,1] row_mask:0xf bank_mask:0xf// 00000000925C: 06B2B2FA FF0055B1
	v_subrev_f32_dpp v90, v177, v90 quad_perm:[2,2,2,2] row_mask:0xf bank_mask:0xf// 000000009264: 06B4B4FA FF00AAB1
	v_subrev_f32_dpp v91, v177, v91 quad_perm:[3,3,3,3] row_mask:0xf bank_mask:0xf// 00000000926C: 06B6B6FA FF00FFB1
	v_subrev_f32_dpp v92, v177, v92 quad_perm:[0,0,0,0] row_mask:0xf bank_mask:0xf// 000000009274: 06B8B8FA FF0000B1
	v_subrev_f32_dpp v93, v177, v93 quad_perm:[1,1,1,1] row_mask:0xf bank_mask:0xf// 00000000927C: 06BABAFA FF0055B1
	v_mfma_f32_16x16x16_bf16 v[220:223], v[128:129], v[168:169], v[220:223]// 000000009284: D3E100DC 07735180
	ds_write_b32 v20, v56 offset:22016                         // 00000000928C: D81A5600 00003814
	ds_write_b32 v20, v57 offset:22560                         // 000000009294: D81A5820 00003914
	v_mfma_f32_16x16x16_bf16 v[224:227], v[130:131], v[168:169], v[224:227]// 00000000929C: D3E100E0 07835182
	v_subrev_f32_dpp v94, v177, v94 quad_perm:[2,2,2,2] row_mask:0xf bank_mask:0xf// 0000000092A4: 06BCBCFA FF00AAB1
	v_subrev_f32_dpp v95, v177, v95 quad_perm:[3,3,3,3] row_mask:0xf bank_mask:0xf// 0000000092AC: 06BEBEFA FF00FFB1
	v_subrev_f32_dpp v96, v177, v96 quad_perm:[0,0,0,0] row_mask:0xf bank_mask:0xf// 0000000092B4: 06C0C0FA FF0000B1
	v_subrev_f32_dpp v97, v177, v97 quad_perm:[1,1,1,1] row_mask:0xf bank_mask:0xf// 0000000092BC: 06C2C2FA FF0055B1
	v_subrev_f32_dpp v98, v177, v98 quad_perm:[2,2,2,2] row_mask:0xf bank_mask:0xf// 0000000092C4: 06C4C4FA FF00AAB1
	v_subrev_f32_dpp v99, v177, v99 quad_perm:[3,3,3,3] row_mask:0xf bank_mask:0xf// 0000000092CC: 06C6C6FA FF00FFB1
	v_mfma_f32_16x16x16_bf16 v[180:183], v[132:133], v[170:171], v[180:183]// 0000000092D4: D3E100B4 06D35584
	v_mul_f32_e32 v88, v64, v88                                // 0000000092DC: 0AB0B140
	v_mul_f32_e32 v89, v65, v89                                // 0000000092E0: 0AB2B341
	v_mul_f32_e32 v90, v66, v90                                // 0000000092E4: 0AB4B542
	v_mul_f32_e32 v91, v67, v91                                // 0000000092E8: 0AB6B743
	v_mul_f32_e32 v92, v68, v92                                // 0000000092EC: 0AB8B944
	v_mul_f32_e32 v93, v69, v93                                // 0000000092F0: 0ABABB45
	v_mfma_f32_16x16x16_bf16 v[184:187], v[134:135], v[170:171], v[184:187]// 0000000092F4: D3E100B8 06E35586
	v_mul_f32_e32 v94, v70, v94                                // 0000000092FC: 0ABCBD46
	v_mul_f32_e32 v95, v71, v95                                // 000000009300: 0ABEBF47
	v_mul_f32_e32 v96, v72, v96                                // 000000009304: 0AC0C148
	v_mul_f32_e32 v97, v73, v97                                // 000000009308: 0AC2C349
	v_mul_f32_e32 v98, v74, v98                                // 00000000930C: 0AC4C54A
	v_mul_f32_e32 v99, v75, v99                                // 000000009310: 0AC6C74B
	v_mfma_f32_16x16x16_bf16 v[188:191], v[136:137], v[170:171], v[188:191]// 000000009314: D3E100BC 06F35588
	v_cmp_u_f32_e64 s[78:79], v88, v88                         // 00000000931C: D048004E 0002B158
	v_add3_u32 v228, v88, v231, 1                              // 000000009324: D1FF00E4 0207CF58
	v_cndmask_b32_e64 v32, v228, v230, s[78:79]                // 00000000932C: D1000020 013BCDE4
	v_cmp_u_f32_e64 s[78:79], v89, v89                         // 000000009334: D048004E 0002B359
	v_add3_u32 v228, v89, v231, 1                              // 00000000933C: D1FF00E4 0207CF59
	v_cndmask_b32_e64 v33, v228, v230, s[78:79]                // 000000009344: D1000021 013BCDE4
	v_perm_b32 v82, v33, v32, s64                              // 00000000934C: D1ED0052 01024121
	v_cmp_u_f32_e64 s[78:79], v90, v90                         // 000000009354: D048004E 0002B55A
	v_add3_u32 v228, v90, v231, 1                              // 00000000935C: D1FF00E4 0207CF5A
	v_cndmask_b32_e64 v32, v228, v230, s[78:79]                // 000000009364: D1000020 013BCDE4
	v_cmp_u_f32_e64 s[78:79], v91, v91                         // 00000000936C: D048004E 0002B75B
	v_add3_u32 v228, v91, v231, 1                              // 000000009374: D1FF00E4 0207CF5B
	v_cndmask_b32_e64 v33, v228, v230, s[78:79]                // 00000000937C: D1000021 013BCDE4
	v_perm_b32 v83, v33, v32, s64                              // 000000009384: D1ED0053 01024121
	v_cmp_u_f32_e64 s[78:79], v92, v92                         // 00000000938C: D048004E 0002B95C
	v_add3_u32 v228, v92, v231, 1                              // 000000009394: D1FF00E4 0207CF5C
	v_cndmask_b32_e64 v32, v228, v230, s[78:79]                // 00000000939C: D1000020 013BCDE4
	v_cmp_u_f32_e64 s[78:79], v93, v93                         // 0000000093A4: D048004E 0002BB5D
	v_add3_u32 v228, v93, v231, 1                              // 0000000093AC: D1FF00E4 0207CF5D
	v_cndmask_b32_e64 v33, v228, v230, s[78:79]                // 0000000093B4: D1000021 013BCDE4
	v_perm_b32 v84, v33, v32, s64                              // 0000000093BC: D1ED0054 01024121
	v_cmp_u_f32_e64 s[78:79], v94, v94                         // 0000000093C4: D048004E 0002BD5E
	v_add3_u32 v228, v94, v231, 1                              // 0000000093CC: D1FF00E4 0207CF5E
	v_cndmask_b32_e64 v32, v228, v230, s[78:79]                // 0000000093D4: D1000020 013BCDE4
	v_cmp_u_f32_e64 s[78:79], v95, v95                         // 0000000093DC: D048004E 0002BF5F
	v_add3_u32 v228, v95, v231, 1                              // 0000000093E4: D1FF00E4 0207CF5F
	v_cndmask_b32_e64 v33, v228, v230, s[78:79]                // 0000000093EC: D1000021 013BCDE4
	v_perm_b32 v85, v33, v32, s64                              // 0000000093F4: D1ED0055 01024121
	v_cmp_u_f32_e64 s[78:79], v96, v96                         // 0000000093FC: D048004E 0002C160
	v_add3_u32 v228, v96, v231, 1                              // 000000009404: D1FF00E4 0207CF60
	v_cndmask_b32_e64 v32, v228, v230, s[78:79]                // 00000000940C: D1000020 013BCDE4
	v_cmp_u_f32_e64 s[78:79], v97, v97                         // 000000009414: D048004E 0002C361
	v_add3_u32 v228, v97, v231, 1                              // 00000000941C: D1FF00E4 0207CF61
	v_cndmask_b32_e64 v33, v228, v230, s[78:79]                // 000000009424: D1000021 013BCDE4
	v_perm_b32 v86, v33, v32, s64                              // 00000000942C: D1ED0056 01024121
	v_cmp_u_f32_e64 s[78:79], v98, v98                         // 000000009434: D048004E 0002C562
	v_add3_u32 v228, v98, v231, 1                              // 00000000943C: D1FF00E4 0207CF62
	v_cndmask_b32_e64 v32, v228, v230, s[78:79]                // 000000009444: D1000020 013BCDE4
	v_cmp_u_f32_e64 s[78:79], v99, v99                         // 00000000944C: D048004E 0002C763
	v_add3_u32 v228, v99, v231, 1                              // 000000009454: D1FF00E4 0207CF63
	v_cndmask_b32_e64 v33, v228, v230, s[78:79]                // 00000000945C: D1000021 013BCDE4
	v_perm_b32 v87, v33, v32, s64                              // 000000009464: D1ED0057 01024121
	v_mfma_f32_16x16x16_bf16 v[192:195], v[138:139], v[170:171], v[192:195]// 00000000946C: D3E100C0 0703558A
	v_mov_b32_dpp v18, v82 quad_perm:[1,0,3,2] row_mask:0xf bank_mask:0xf// 000000009474: 7E2402FA FF00B152
	v_perm_b32 v58, v18, v82, v17                              // 00000000947C: D1ED003A 0446A512
	v_mov_b32_dpp v18, v83 quad_perm:[1,0,3,2] row_mask:0xf bank_mask:0xf// 000000009484: 7E2402FA FF00B153
	v_perm_b32 v59, v18, v83, v17                              // 00000000948C: D1ED003B 0446A712
	v_mov_b32_dpp v18, v84 quad_perm:[1,0,3,2] row_mask:0xf bank_mask:0xf// 000000009494: 7E2402FA FF00B154
	v_perm_b32 v60, v18, v84, v17                              // 00000000949C: D1ED003C 0446A912
	v_mfma_f32_16x16x16_bf16 v[196:199], v[132:133], v[172:173], v[196:199]// 0000000094A4: D3E100C4 07135984
	ds_write_b32 v20, v58 offset:24320                         // 0000000094AC: D81A5F00 00003A14
	ds_write_b32 v20, v59 offset:24864                         // 0000000094B4: D81A6120 00003B14
	v_mfma_f32_16x16x16_bf16 v[200:203], v[134:135], v[172:173], v[200:203]// 0000000094BC: D3E100C8 07235986
	v_mov_b32_dpp v18, v85 quad_perm:[1,0,3,2] row_mask:0xf bank_mask:0xf// 0000000094C4: 7E2402FA FF00B155
	v_perm_b32 v61, v18, v85, v17                              // 0000000094CC: D1ED003D 0446AB12
	v_mov_b32_dpp v18, v86 quad_perm:[1,0,3,2] row_mask:0xf bank_mask:0xf// 0000000094D4: 7E2402FA FF00B156
	v_perm_b32 v62, v18, v86, v17                              // 0000000094DC: D1ED003E 0446AD12
	v_mov_b32_dpp v18, v87 quad_perm:[1,0,3,2] row_mask:0xf bank_mask:0xf// 0000000094E4: 7E2402FA FF00B157
	v_perm_b32 v63, v18, v87, v17                              // 0000000094EC: D1ED003F 0446AF12
	v_mfma_f32_16x16x16_bf16 v[204:207], v[136:137], v[172:173], v[204:207]// 0000000094F4: D3E100CC 07335988
	ds_write_b32 v20, v60 offset:26624                         // 0000000094FC: D81A6800 00003C14
	ds_write_b32 v20, v61 offset:27168                         // 000000009504: D81A6A20 00003D14
	ds_write_b32 v20, v62 offset:28928                         // 00000000950C: D81A7100 00003E14
	ds_write_b32 v20, v63 offset:29472                         // 000000009514: D81A7320 00003F14
	v_mfma_f32_16x16x16_bf16 v[208:211], v[138:139], v[172:173], v[208:211]// 00000000951C: D3E100D0 0743598A
	v_mfma_f32_16x16x16_bf16 v[212:215], v[132:133], v[174:175], v[212:215]// 000000009524: D3E100D4 07535D84
	ds_write_b32 v15, v100 offset:4352                         // 00000000952C: D81A1100 0000640F
	ds_write_b32 v15, v101 offset:5408                         // 000000009534: D81A1520 0000650F
	v_mfma_f32_16x16x16_bf16 v[216:219], v[134:135], v[174:175], v[216:219]// 00000000953C: D3E100D8 07635D86
	v_mfma_f32_16x16x16_bf16 v[220:223], v[136:137], v[174:175], v[220:223]// 000000009544: D3E100DC 07735D88
	ds_write_b32 v15, v102 offset:6528                         // 00000000954C: D81A1980 0000660F
	ds_write_b32 v15, v103 offset:7584                         // 000000009554: D81A1DA0 0000670F
	v_mfma_f32_16x16x16_bf16 v[224:227], v[138:139], v[174:175], v[224:227]// 00000000955C: D3E100E0 07835D8A
	s_nop 0                                                    // 000000009564: BF800000
	s_nop 0                                                    // 000000009568: BF800000
	s_nop 0                                                    // 00000000956C: BF800000
	s_barrier                                                  // 000000009570: BF8A0000
	v_mfma_f32_16x16x16_bf16 a[112:115], a[96:97], v[76:77], a[112:115]// 000000009574: D3E18070 0DC29960
	ds_read_b32 v140, v23 offset:39936                         // 00000000957C: D86C9C00 8C000017
	ds_read_b32 v144, v23 offset:40000                         // 000000009584: D86C9C40 90000017
	ds_read_b32 v176, v23 offset:40192                         // 00000000958C: D86C9D00 B0000017
	ds_read_b32 v177, v23 offset:40256                         // 000000009594: D86C9D40 B1000017
	v_mfma_f32_16x16x16_bf16 a[116:119], a[98:99], v[76:77], a[116:119]// 00000000959C: D3E18074 0DD29962
	buffer_atomic_add_f32 v156, v6, s[32:35], 0 idxen          // 0000000095A4: E1342000 80089C06
	v_mfma_f32_16x16x16_bf16 a[120:123], a[100:101], v[76:77], a[120:123]// 0000000095AC: D3E18078 0DE29964
	s_waitcnt lgkmcnt(8)                                       // 0000000095B4: BF8CC87F
	s_barrier                                                  // 0000000095B8: BF8A0000
	v_mfma_f32_16x16x16_bf16 a[124:127], a[102:103], v[76:77], a[124:127]// 0000000095BC: D3E1807C 0DF29966
	v_mfma_f32_16x16x16_bf16 a[128:131], a[96:97], v[78:79], a[128:131]// 0000000095C4: D3E18080 0E029D60
	ds_read_b128 v[52:55], v19 offset:17408                    // 0000000095CC: D9FE4400 34000013
	v_mfma_f32_16x16x16_bf16 a[132:135], a[98:99], v[78:79], a[132:135]// 0000000095D4: D3E18084 0E129D62
	v_mfma_f32_16x16x16_bf16 a[136:139], a[100:101], v[78:79], a[136:139]// 0000000095DC: D3E18088 0E229D64
	ds_read_b128 v[56:59], v19 offset:18560                    // 0000000095E4: D9FE4880 38000013
	v_mfma_f32_16x16x16_bf16 a[140:143], a[102:103], v[78:79], a[140:143]// 0000000095EC: D3E1808C 0E329D66
	buffer_atomic_add_f32 v157, v7, s[32:35], 0 idxen          // 0000000095F4: E1342000 80089D07
	v_mfma_f32_16x16x16_bf16 a[144:147], a[96:97], v[80:81], a[144:147]// 0000000095FC: D3E18090 0E42A160
	ds_read_b128 v[60:63], v19 offset:19712                    // 000000009604: D9FE4D00 3C000013
	v_mfma_f32_16x16x16_bf16 a[148:151], a[98:99], v[80:81], a[148:151]// 00000000960C: D3E18094 0E52A162
	v_mfma_f32_16x16x16_bf16 a[152:155], a[100:101], v[80:81], a[152:155]// 000000009614: D3E18098 0E62A164
	ds_read_b128 v[64:67], v19 offset:20864                    // 00000000961C: D9FE5180 40000013
	v_mfma_f32_16x16x16_bf16 a[156:159], a[102:103], v[80:81], a[156:159]// 000000009624: D3E1809C 0E72A166
	v_mfma_f32_16x16x16_bf16 a[112:115], a[104:105], v[82:83], a[112:115]// 00000000962C: D3E18070 0DC2A568
	ds_read_b128 v[68:71], v19 offset:22016                    // 000000009634: D9FE5600 44000013
	v_mfma_f32_16x16x16_bf16 a[116:119], a[106:107], v[82:83], a[116:119]// 00000000963C: D3E18074 0DD2A56A
	buffer_atomic_add_f32 v158, v6, s[32:35], 0 idxen offset:128// 000000009644: E1342080 80089E06
	v_mfma_f32_16x16x16_bf16 a[120:123], a[108:109], v[82:83], a[120:123]// 00000000964C: D3E18078 0DE2A56C
	ds_read_b128 v[72:75], v19 offset:23168                    // 000000009654: D9FE5A80 48000013
	v_mfma_f32_16x16x16_bf16 a[124:127], a[110:111], v[82:83], a[124:127]// 00000000965C: D3E1807C 0DF2A56E
	v_mfma_f32_16x16x16_bf16 a[128:131], a[104:105], v[84:85], a[128:131]// 000000009664: D3E18080 0E02A968
	ds_write_b32 v15, v104 offset:13056                        // 00000000966C: D81A3300 0000680F
	v_mfma_f32_16x16x16_bf16 a[132:135], a[106:107], v[84:85], a[132:135]// 000000009674: D3E18084 0E12A96A
	v_mfma_f32_16x16x16_bf16 a[136:139], a[108:109], v[84:85], a[136:139]// 00000000967C: D3E18088 0E22A96C
	ds_write_b32 v15, v105 offset:14112                        // 000000009684: D81A3720 0000690F
	v_mfma_f32_16x16x16_bf16 a[140:143], a[110:111], v[84:85], a[140:143]// 00000000968C: D3E1808C 0E32A96E
	buffer_atomic_add_f32 v159, v7, s[32:35], 0 idxen offset:128// 000000009694: E1342080 80089F07
	v_mfma_f32_16x16x16_bf16 a[144:147], a[104:105], v[86:87], a[144:147]// 00000000969C: D3E18090 0E42AD68
	ds_write_b32 v15, v106 offset:15232                        // 0000000096A4: D81A3B80 00006A0F
	v_mfma_f32_16x16x16_bf16 a[148:151], a[106:107], v[86:87], a[148:151]// 0000000096AC: D3E18094 0E52AD6A
	v_mfma_f32_16x16x16_bf16 a[152:155], a[108:109], v[86:87], a[152:155]// 0000000096B4: D3E18098 0E62AD6C
	ds_write_b32 v15, v107 offset:16288                        // 0000000096BC: D81A3FA0 00006B0F
	v_mfma_f32_16x16x16_bf16 a[156:159], a[110:111], v[86:87], a[156:159]// 0000000096C4: D3E1809C 0E72AD6E
	s_waitcnt vmcnt(8) lgkmcnt(4)                              // 0000000096CC: BF8C0478
	s_barrier                                                  // 0000000096D0: BF8A0000
	v_mfma_f32_16x16x16_bf16 v[148:151], v[52:53], a[24:25], 0 // 0000000096D4: D3E10094 12023134
	ds_read_b128 a[96:99], v12                                 // 0000000096DC: DBFE0000 6000000C
	buffer_load_dword v40, v1, s[8:11], 0 idxen                // 0000000096E4: E0502000 80022801
	v_mfma_f32_16x16x16_bf16 v[148:151], v[54:55], a[28:29], v[148:151]// 0000000096EC: D3E10094 16523936
	v_mul_f32_e32 v140, s48, v140                              // 0000000096F4: 0B191830
	v_mul_f32_e32 v144, s48, v144                              // 0000000096F8: 0B212030
	s_nop 0                                                    // 0000000096FC: BF800000
	v_mfma_f32_16x16x16_bf16 v[148:151], v[56:57], a[32:33], v[148:151]// 000000009700: D3E10094 16524138
	ds_read_b128 a[100:103], v12 offset:512                    // 000000009708: DBFE0200 6400000C
	buffer_load_dword v41, v2, s[8:11], 0 idxen                // 000000009710: E0502000 80022902
	v_mfma_f32_16x16x16_bf16 v[148:151], v[58:59], a[36:37], v[148:151]// 000000009718: D3E10094 1652493A
	v_mfma_f32_16x16x16_bf16 v[148:151], v[60:61], a[40:41], v[148:151]// 000000009720: D3E10094 1652513C
	ds_read_b128 a[104:107], v12 offset:2176                   // 000000009728: DBFE0880 6800000C
	buffer_load_dword v42, v3, s[8:11], 0 idxen                // 000000009730: E0502000 80022A03
	v_mfma_f32_16x16x16_bf16 v[148:151], v[62:63], a[44:45], v[148:151]// 000000009738: D3E10094 1652593E
	v_perm_b32 v100, v37, v36, s63                             // 000000009740: D1ED0064 00FE4925
	v_perm_b32 v101, v37, v36, s64                             // 000000009748: D1ED0065 01024925
	v_mfma_f32_16x16x16_bf16 v[148:151], v[64:65], a[48:49], v[148:151]// 000000009750: D3E10094 16526140
	ds_read_b128 a[108:111], v12 offset:2688                   // 000000009758: DBFE0A80 6C00000C
	buffer_load_dword v43, v4, s[8:11], 0 idxen                // 000000009760: E0502000 80022B04
	v_mfma_f32_16x16x16_bf16 v[148:151], v[66:67], a[52:53], v[148:151]// 000000009768: D3E10094 16526942
	v_perm_b32 v102, v39, v38, s63                             // 000000009770: D1ED0066 00FE4D27
	v_perm_b32 v103, v39, v38, s64                             // 000000009778: D1ED0067 01024D27
	v_mfma_f32_16x16x16_bf16 v[148:151], v[68:69], a[56:57], v[148:151]// 000000009780: D3E10094 16527144
	ds_read_b128 v[108:111], v12 offset:8704                   // 000000009788: D9FE2200 6C00000C
	buffer_load_dword v48, v232, s[20:23], 0 idxen             // 000000009790: E0502000 800530E8
	v_mfma_f32_16x16x16_bf16 v[148:151], v[70:71], a[60:61], v[148:151]// 000000009798: D3E10094 16527946
	v_perm_b32 v104, v45, v44, s63                             // 0000000097A0: D1ED0068 00FE592D
	v_perm_b32 v105, v45, v44, s64                             // 0000000097A8: D1ED0069 0102592D
	v_mfma_f32_16x16x16_bf16 v[148:151], v[72:73], a[64:65], v[148:151]// 0000000097B0: D3E10094 16528148
	ds_read_b128 v[112:115], v12 offset:9216                   // 0000000097B8: D9FE2400 7000000C
	buffer_load_dword v49, v233, s[20:23], 0 idxen             // 0000000097C0: E0502000 800531E9
	v_mfma_f32_16x16x16_bf16 v[148:151], v[74:75], a[68:69], v[148:151]// 0000000097C8: D3E10094 1652894A
	v_perm_b32 v106, v47, v46, s63                             // 0000000097D0: D1ED006A 00FE5D2F
	v_perm_b32 v107, v47, v46, s64                             // 0000000097D8: D1ED006B 01025D2F
	v_mfma_f32_16x16x16_bf16 v[152:155], v[52:53], a[26:27], 0 // 0000000097E0: D3E10098 12023534
	ds_read_b128 v[116:119], v12 offset:10880                  // 0000000097E8: D9FE2A80 7400000C
	buffer_load_dword v50, v234, s[20:23], 0 idxen             // 0000000097F0: E0502000 800532EA
	v_mfma_f32_16x16x16_bf16 v[152:155], v[54:55], a[30:31], v[152:155]// 0000000097F8: D3E10098 16623D36
	v_mov_b32_dpp v143, v140 quad_perm:[3,3,3,3] row_mask:0xf bank_mask:0xf// 000000009800: 7F1E02FA FF00FF8C
	v_mov_b32_dpp v142, v140 quad_perm:[2,2,2,2] row_mask:0xf bank_mask:0xf// 000000009808: 7F1C02FA FF00AA8C
	v_mov_b32_dpp v141, v140 quad_perm:[1,1,1,1] row_mask:0xf bank_mask:0xf// 000000009810: 7F1A02FA FF00558C
	v_mov_b32_dpp v140, v140 quad_perm:[0,0,0,0] row_mask:0xf bank_mask:0xf// 000000009818: 7F1802FA FF00008C
	v_mfma_f32_16x16x16_bf16 v[152:155], v[56:57], a[34:35], v[152:155]// 000000009820: D3E10098 16624538
	ds_read_b128 v[120:123], v12 offset:11392                  // 000000009828: D9FE2C80 7800000C
	buffer_load_dword v51, v235, s[20:23], 0 idxen             // 000000009830: E0502000 800533EB
	v_mfma_f32_16x16x16_bf16 v[152:155], v[58:59], a[38:39], v[152:155]// 000000009838: D3E10098 16624D3A
	v_mov_b32_dpp v147, v144 quad_perm:[3,3,3,3] row_mask:0xf bank_mask:0xf// 000000009840: 7F2602FA FF00FF90
	v_mov_b32_dpp v146, v144 quad_perm:[2,2,2,2] row_mask:0xf bank_mask:0xf// 000000009848: 7F2402FA FF00AA90
	v_mov_b32_dpp v145, v144 quad_perm:[1,1,1,1] row_mask:0xf bank_mask:0xf// 000000009850: 7F2202FA FF005590
	v_mov_b32_dpp v144, v144 quad_perm:[0,0,0,0] row_mask:0xf bank_mask:0xf// 000000009858: 7F2002FA FF000090
	s_add_u32 s60, 0x80, s59                                   // 000000009860: 803C3BFF 00000080
	v_mfma_f32_16x16x16_bf16 v[152:155], v[60:61], a[42:43], v[152:155]// 000000009868: D3E10098 1662553C
	buffer_load_dword v11, s[24:27], 0 idxen lds               // 000000009870: E0512000 8006000B
	v_mfma_f32_16x16x16_bf16 v[152:155], v[62:63], a[46:47], v[152:155]// 000000009878: D3E10098 16625D3E
	s_cmp_lt_u32 s60, s58                                      // 000000009880: BF0A3A3C
	s_cselect_b32 s68, s68, 0                                  // 000000009884: 85448044
	s_cselect_b32 s100, s100, 0                                // 000000009888: 85648064
	s_cselect_b32 s69, s69, 0                                  // 00000000988C: 85458045
	v_mfma_f32_16x16x16_bf16 v[152:155], v[64:65], a[50:51], v[152:155]// 000000009890: D3E10098 16626540
	v_add_u32_e32 v1, s68, v1                                  // 000000009898: 68020244
	v_add_u32_e32 v2, s68, v2                                  // 00000000989C: 68040444
	v_add_u32_e32 v3, s68, v3                                  // 0000000098A0: 68060644
	v_add_u32_e32 v4, s68, v4                                  // 0000000098A4: 68080844
	v_mfma_f32_16x16x16_bf16 v[152:155], v[66:67], a[54:55], v[152:155]// 0000000098A8: D3E10098 16626D42
	v_add_u32_e32 v232, s100, v232                             // 0000000098B0: 69D1D064
	v_add_u32_e32 v233, s100, v233                             // 0000000098B4: 69D3D264
	v_add_u32_e32 v234, s100, v234                             // 0000000098B8: 69D5D464
	v_add_u32_e32 v235, s100, v235                             // 0000000098BC: 69D7D664
	v_mfma_f32_16x16x16_bf16 v[152:155], v[68:69], a[58:59], v[152:155]// 0000000098C0: D3E10098 16627544
	s_mov_b32 m0, s80                                          // 0000000098C8: BEFC0050
	v_add_u32_e32 v11, s69, v11                                // 0000000098CC: 68161645
	v_mfma_f32_16x16x16_bf16 v[152:155], v[70:71], a[62:63], v[152:155]// 0000000098D0: D3E10098 16627D46
	s_cmp_ge_u32 s59, s73                                      // 0000000098D8: BF09493B
	s_cselect_b32 s66, s67, s66                                // 0000000098DC: 85424243
	v_mfma_f32_16x16x16_bf16 v[152:155], v[72:73], a[66:67], v[152:155]// 0000000098E0: D3E10098 16628548
	s_addk_i32 s59, 0x20                                       // 0000000098E8: B73B0020
	s_nop 0                                                    // 0000000098EC: BF800000
	s_cmp_lt_i32 s59, s58                                      // 0000000098F0: BF043A3B
	v_mfma_f32_16x16x16_bf16 v[152:155], v[74:75], a[70:71], v[152:155]// 0000000098F4: D3E10098 16628D4A
	s_cbranch_scc0 label_1105                                  // 0000000098FC: BF84FAB3
	s_waitcnt lgkmcnt(4)                                       // 000000009900: BF8CC47F
	s_barrier                                                  // 000000009904: BF8A0000
	v_mfma_f32_16x16x16_bf16 v[52:55], a[96:97], a[0:1], 0     // 000000009908: D3E10034 1A020160
	v_mul_f32_e32 v148, s47, v148                              // 000000009910: 0B29282F
	v_mul_f32_e32 v149, s47, v149                              // 000000009914: 0B2B2A2F
	v_mfma_f32_16x16x16_bf16 v[52:55], a[98:99], a[2:3], v[52:55]// 000000009918: D3E10034 1CD20562
	ds_write_b32 v13, v44 offset:8704                          // 000000009920: D81A2200 00002C0D
	ds_write_b32 v13, v45 offset:9760                          // 000000009928: D81A2620 00002D0D
	v_mfma_f32_16x16x16_bf16 v[52:55], a[100:101], a[4:5], v[52:55]// 000000009930: D3E10034 1CD20964
	v_mul_f32_e32 v150, s47, v150                              // 000000009938: 0B2D2C2F
	v_mul_f32_e32 v151, s47, v151                              // 00000000993C: 0B2F2E2F
	v_mfma_f32_16x16x16_bf16 v[52:55], a[102:103], a[6:7], v[52:55]// 000000009940: D3E10034 1CD20D66
	ds_write_b32 v13, v46 offset:10880                         // 000000009948: D81A2A80 00002E0D
	ds_write_b32 v13, v47 offset:11936                         // 000000009950: D81A2EA0 00002F0D
	v_mfma_f32_16x16x16_bf16 v[56:59], a[96:97], a[8:9], 0     // 000000009958: D3E10038 1A021160
	v_mul_f32_e32 v152, s47, v152                              // 000000009960: 0B31302F
	v_mul_f32_e32 v153, s47, v153                              // 000000009964: 0B33322F
	v_mfma_f32_16x16x16_bf16 v[56:59], a[98:99], a[10:11], v[56:59]// 000000009968: D3E10038 1CE21562
	ds_write_b64 v22, v[148:149] offset:31232                  // 000000009970: D89A7A00 00009416
	v_mfma_f32_16x16x16_bf16 v[56:59], a[100:101], a[12:13], v[56:59]// 000000009978: D3E10038 1CE21964
	v_mul_f32_e32 v154, s47, v154                              // 000000009980: 0B35342F
	v_mul_f32_e32 v155, s47, v155                              // 000000009984: 0B37362F
	v_mfma_f32_16x16x16_bf16 v[56:59], a[102:103], a[14:15], v[56:59]// 000000009988: D3E10038 1CE21D66
	ds_write_b64 v22, v[150:151] offset:31744                  // 000000009990: D89A7C00 00009616
	v_mfma_f32_16x16x16_bf16 v[60:63], a[96:97], a[16:17], 0   // 000000009998: D3E1003C 1A022160
	buffer_atomic_add_f32 v160, v8, s[32:35], 0 idxen          // 0000000099A0: E1342000 8008A008
	v_mfma_f32_16x16x16_bf16 v[60:63], a[98:99], a[18:19], v[60:63]// 0000000099A8: D3E1003C 1CF22562
	ds_write_b64 v22, v[152:153] offset:32256                  // 0000000099B0: D89A7E00 00009816
	v_mfma_f32_16x16x16_bf16 v[60:63], a[100:101], a[20:21], v[60:63]// 0000000099B8: D3E1003C 1CF22964
	v_mfma_f32_16x16x16_bf16 v[60:63], a[102:103], a[22:23], v[60:63]// 0000000099C0: D3E1003C 1CF22D66
	ds_write_b64 v22, v[154:155] offset:32768                  // 0000000099C8: D89A8000 00009A16
	v_mfma_f32_16x16x16_bf16 v[64:67], a[104:105], a[0:1], 0   // 0000000099D0: D3E10040 1A020168
	buffer_atomic_add_f32 v161, v9, s[32:35], 0 idxen          // 0000000099D8: E1342000 8008A109
	v_mfma_f32_16x16x16_bf16 v[64:67], a[106:107], a[2:3], v[64:67]// 0000000099E0: D3E10040 1D02056A
	ds_read_b128 v[124:127], v14 offset:13056                  // 0000000099E8: D9FE3300 7C00000E
	ds_write_b32 v13, v36                                      // 0000000099F0: D81A0000 0000240D
	v_mfma_f32_16x16x16_bf16 v[64:67], a[108:109], a[4:5], v[64:67]// 0000000099F8: D3E10040 1D02096C
	v_mfma_f32_16x16x16_bf16 v[64:67], a[110:111], a[6:7], v[64:67]// 000000009A00: D3E10040 1D020D6E
	v_mfma_f32_16x16x16_bf16 v[68:71], a[104:105], a[8:9], 0   // 000000009A08: D3E10044 1A021168
	ds_read_b128 v[128:131], v14 offset:13568                  // 000000009A10: D9FE3500 8000000E
	ds_write_b32 v13, v37 offset:1056                          // 000000009A18: D81A0420 0000250D
	v_mfma_f32_16x16x16_bf16 v[68:71], a[106:107], a[10:11], v[68:71]// 000000009A20: D3E10044 1D12156A
	buffer_atomic_add_f32 v162, v8, s[32:35], 0 idxen offset:128// 000000009A28: E1342080 8008A208
	v_mfma_f32_16x16x16_bf16 v[68:71], a[108:109], a[12:13], v[68:71]// 000000009A30: D3E10044 1D12196C
	v_mfma_f32_16x16x16_bf16 v[68:71], a[110:111], a[14:15], v[68:71]// 000000009A38: D3E10044 1D121D6E
	ds_read_b128 v[132:135], v14 offset:15232                  // 000000009A40: D9FE3B80 8400000E
	ds_write_b32 v13, v38 offset:2176                          // 000000009A48: D81A0880 0000260D
	v_mfma_f32_16x16x16_bf16 v[72:75], a[104:105], a[16:17], 0 // 000000009A50: D3E10048 1A022168
	v_mfma_f32_16x16x16_bf16 v[72:75], a[106:107], a[18:19], v[72:75]// 000000009A58: D3E10048 1D22256A
	buffer_atomic_add_f32 v163, v9, s[32:35], 0 idxen offset:128// 000000009A60: E1342080 8008A309
	v_mfma_f32_16x16x16_bf16 v[72:75], a[108:109], a[20:21], v[72:75]// 000000009A68: D3E10048 1D22296C
	ds_read_b128 v[136:139], v14 offset:15744                  // 000000009A70: D9FE3D80 8800000E
	ds_write_b32 v13, v39 offset:3232                          // 000000009A78: D81A0CA0 0000270D
	v_mfma_f32_16x16x16_bf16 v[72:75], a[110:111], a[22:23], v[72:75]// 000000009A80: D3E10048 1D222D6E
	s_cmp_lt_i32 s74, 12                                       // 000000009A88: BF048C4A
	s_cbranch_scc0 label_17A5                                  // 000000009A8C: BF8400E6
	s_mov_b32 s60, 0xffe0fffe                                  // 000000009A90: BEBC00FF FFE0FFFE
	s_mov_b32 s61, 0xe000fe00                                  // 000000009A98: BEBD00FF E000FE00
	s_nop 0                                                    // 000000009AA0: BF800000
	s_add_u32 s62, 0, s46                                      // 000000009AA4: 803E2E80
	s_cmp_lt_i32 s74, s62                                      // 000000009AA8: BF043E4A
	s_cbranch_scc1 label_16EF                                  // 000000009AAC: BF850028
	s_cmp_eq_i32 s74, s62                                      // 000000009AB0: BF003E4A
	s_cbranch_scc1 label_16D4                                  // 000000009AB4: BF85000B
	s_add_u32 s62, 4, s46                                      // 000000009AB8: 803E2E84
	s_cmp_lt_i32 s74, s62                                      // 000000009ABC: BF043E4A
	s_cbranch_scc1 label_170F                                  // 000000009AC0: BF850043
	s_cmp_eq_i32 s74, s62                                      // 000000009AC4: BF003E4A
	s_cbranch_scc1 label_16F4                                  // 000000009AC8: BF850026
	s_add_u32 s62, 8, s46                                      // 000000009ACC: 803E2E88
	s_cmp_lt_i32 s74, s62                                      // 000000009AD0: BF043E4A
	s_cbranch_scc1 label_172F                                  // 000000009AD4: BF85005E
	s_cmp_eq_i32 s74, s62                                      // 000000009AD8: BF003E4A
	s_cbranch_scc1 label_1714                                  // 000000009ADC: BF850041
	s_branch label_1734                                        // 000000009AE0: BF820060

0000000000009ae4 <label_16D4>:
	v_cndmask_b32_e64 v52, v52, v178, s[60:61]                 // 000000009AE4: D1000034 00F36534
	s_lshl_b32 s60, s60, 1                                     // 000000009AEC: 8E3C813C
	s_lshl_b32 s61, s61, 1                                     // 000000009AF0: 8E3D813D
	s_and_b32 s60, 0xfffeffff, s60                             // 000000009AF4: 863C3CFF FFFEFFFF
	s_and_b32 s61, 0xfffeffff, s61                             // 000000009AFC: 863D3DFF FFFEFFFF
	v_cndmask_b32_e64 v53, v53, v178, s[60:61]                 // 000000009B04: D1000035 00F36535
	s_lshl_b32 s60, s60, 1                                     // 000000009B0C: 8E3C813C
	s_lshl_b32 s61, s61, 1                                     // 000000009B10: 8E3D813D
	s_and_b32 s60, 0xfffeffff, s60                             // 000000009B14: 863C3CFF FFFEFFFF
	s_and_b32 s61, 0xfffeffff, s61                             // 000000009B1C: 863D3DFF FFFEFFFF
	v_cndmask_b32_e64 v54, v54, v178, s[60:61]                 // 000000009B24: D1000036 00F36536
	s_lshl_b32 s60, s60, 1                                     // 000000009B2C: 8E3C813C
	s_lshl_b32 s61, s61, 1                                     // 000000009B30: 8E3D813D
	s_and_b32 s60, 0xfffeffff, s60                             // 000000009B34: 863C3CFF FFFEFFFF
	s_and_b32 s61, 0xfffeffff, s61                             // 000000009B3C: 863D3DFF FFFEFFFF
	v_cndmask_b32_e64 v55, v55, v178, s[60:61]                 // 000000009B44: D1000037 00F36537
	s_branch label_170F                                        // 000000009B4C: BF820020

0000000000009b50 <label_16EF>:
	v_mov_b32_e32 v52, v178                                    // 000000009B50: 7E6803B2
	v_mov_b32_e32 v53, v178                                    // 000000009B54: 7E6A03B2
	v_mov_b32_e32 v54, v178                                    // 000000009B58: 7E6C03B2
	v_mov_b32_e32 v55, v178                                    // 000000009B5C: 7E6E03B2
	s_branch label_170F                                        // 000000009B60: BF82001B

0000000000009b64 <label_16F4>:
	v_cndmask_b32_e64 v56, v56, v178, s[60:61]                 // 000000009B64: D1000038 00F36538
	s_lshl_b32 s60, s60, 1                                     // 000000009B6C: 8E3C813C
	s_lshl_b32 s61, s61, 1                                     // 000000009B70: 8E3D813D
	s_and_b32 s60, 0xfffeffff, s60                             // 000000009B74: 863C3CFF FFFEFFFF
	s_and_b32 s61, 0xfffeffff, s61                             // 000000009B7C: 863D3DFF FFFEFFFF
	v_cndmask_b32_e64 v57, v57, v178, s[60:61]                 // 000000009B84: D1000039 00F36539
	s_lshl_b32 s60, s60, 1                                     // 000000009B8C: 8E3C813C
	s_lshl_b32 s61, s61, 1                                     // 000000009B90: 8E3D813D
	s_and_b32 s60, 0xfffeffff, s60                             // 000000009B94: 863C3CFF FFFEFFFF
	s_and_b32 s61, 0xfffeffff, s61                             // 000000009B9C: 863D3DFF FFFEFFFF
	v_cndmask_b32_e64 v58, v58, v178, s[60:61]                 // 000000009BA4: D100003A 00F3653A
	s_lshl_b32 s60, s60, 1                                     // 000000009BAC: 8E3C813C
	s_lshl_b32 s61, s61, 1                                     // 000000009BB0: 8E3D813D
	s_and_b32 s60, 0xfffeffff, s60                             // 000000009BB4: 863C3CFF FFFEFFFF
	s_and_b32 s61, 0xfffeffff, s61                             // 000000009BBC: 863D3DFF FFFEFFFF
	v_cndmask_b32_e64 v59, v59, v178, s[60:61]                 // 000000009BC4: D100003B 00F3653B
	s_branch label_172F                                        // 000000009BCC: BF820020

0000000000009bd0 <label_170F>:
	v_mov_b32_e32 v56, v178                                    // 000000009BD0: 7E7003B2
	v_mov_b32_e32 v57, v178                                    // 000000009BD4: 7E7203B2
	v_mov_b32_e32 v58, v178                                    // 000000009BD8: 7E7403B2
	v_mov_b32_e32 v59, v178                                    // 000000009BDC: 7E7603B2
	s_branch label_172F                                        // 000000009BE0: BF82001B

0000000000009be4 <label_1714>:
	v_cndmask_b32_e64 v60, v60, v178, s[60:61]                 // 000000009BE4: D100003C 00F3653C
	s_lshl_b32 s60, s60, 1                                     // 000000009BEC: 8E3C813C
	s_lshl_b32 s61, s61, 1                                     // 000000009BF0: 8E3D813D
	s_and_b32 s60, 0xfffeffff, s60                             // 000000009BF4: 863C3CFF FFFEFFFF
	s_and_b32 s61, 0xfffeffff, s61                             // 000000009BFC: 863D3DFF FFFEFFFF
	v_cndmask_b32_e64 v61, v61, v178, s[60:61]                 // 000000009C04: D100003D 00F3653D
	s_lshl_b32 s60, s60, 1                                     // 000000009C0C: 8E3C813C
	s_lshl_b32 s61, s61, 1                                     // 000000009C10: 8E3D813D
	s_and_b32 s60, 0xfffeffff, s60                             // 000000009C14: 863C3CFF FFFEFFFF
	s_and_b32 s61, 0xfffeffff, s61                             // 000000009C1C: 863D3DFF FFFEFFFF
	v_cndmask_b32_e64 v62, v62, v178, s[60:61]                 // 000000009C24: D100003E 00F3653E
	s_lshl_b32 s60, s60, 1                                     // 000000009C2C: 8E3C813C
	s_lshl_b32 s61, s61, 1                                     // 000000009C30: 8E3D813D
	s_and_b32 s60, 0xfffeffff, s60                             // 000000009C34: 863C3CFF FFFEFFFF
	s_and_b32 s61, 0xfffeffff, s61                             // 000000009C3C: 863D3DFF FFFEFFFF
	v_cndmask_b32_e64 v63, v63, v178, s[60:61]                 // 000000009C44: D100003F 00F3653F
	s_branch label_1734                                        // 000000009C4C: BF820005

0000000000009c50 <label_172F>:
	v_mov_b32_e32 v60, v178                                    // 000000009C50: 7E7803B2
	v_mov_b32_e32 v61, v178                                    // 000000009C54: 7E7A03B2
	v_mov_b32_e32 v62, v178                                    // 000000009C58: 7E7C03B2
	v_mov_b32_e32 v63, v178                                    // 000000009C5C: 7E7E03B2
	s_branch label_1734                                        // 000000009C60: BF820000

0000000000009c64 <label_1734>:
	s_addk_i32 s74, 0x1                                        // 000000009C64: B74A0001
	s_add_u32 s62, 0, s46                                      // 000000009C68: 803E2E80
	s_cmp_lt_i32 s74, s62                                      // 000000009C6C: BF043E4A
	s_cbranch_scc1 label_1760                                  // 000000009C70: BF850028
	s_cmp_eq_i32 s74, s62                                      // 000000009C74: BF003E4A
	s_cbranch_scc1 label_1745                                  // 000000009C78: BF85000B
	s_add_u32 s62, 4, s46                                      // 000000009C7C: 803E2E84
	s_cmp_lt_i32 s74, s62                                      // 000000009C80: BF043E4A
	s_cbranch_scc1 label_1780                                  // 000000009C84: BF850043
	s_cmp_eq_i32 s74, s62                                      // 000000009C88: BF003E4A
	s_cbranch_scc1 label_1765                                  // 000000009C8C: BF850026
	s_add_u32 s62, 8, s46                                      // 000000009C90: 803E2E88
	s_cmp_lt_i32 s74, s62                                      // 000000009C94: BF043E4A
	s_cbranch_scc1 label_17A0                                  // 000000009C98: BF85005E
	s_cmp_eq_i32 s74, s62                                      // 000000009C9C: BF003E4A
	s_cbranch_scc1 label_1785                                  // 000000009CA0: BF850041
	s_branch label_17A5                                        // 000000009CA4: BF820060

0000000000009ca8 <label_1745>:
	v_cndmask_b32_e64 v64, v64, v178, s[60:61]                 // 000000009CA8: D1000040 00F36540
	s_lshl_b32 s60, s60, 1                                     // 000000009CB0: 8E3C813C
	s_lshl_b32 s61, s61, 1                                     // 000000009CB4: 8E3D813D
	s_and_b32 s60, 0xfffeffff, s60                             // 000000009CB8: 863C3CFF FFFEFFFF
	s_and_b32 s61, 0xfffeffff, s61                             // 000000009CC0: 863D3DFF FFFEFFFF
	v_cndmask_b32_e64 v65, v65, v178, s[60:61]                 // 000000009CC8: D1000041 00F36541
	s_lshl_b32 s60, s60, 1                                     // 000000009CD0: 8E3C813C
	s_lshl_b32 s61, s61, 1                                     // 000000009CD4: 8E3D813D
	s_and_b32 s60, 0xfffeffff, s60                             // 000000009CD8: 863C3CFF FFFEFFFF
	s_and_b32 s61, 0xfffeffff, s61                             // 000000009CE0: 863D3DFF FFFEFFFF
	v_cndmask_b32_e64 v66, v66, v178, s[60:61]                 // 000000009CE8: D1000042 00F36542
	s_lshl_b32 s60, s60, 1                                     // 000000009CF0: 8E3C813C
	s_lshl_b32 s61, s61, 1                                     // 000000009CF4: 8E3D813D
	s_and_b32 s60, 0xfffeffff, s60                             // 000000009CF8: 863C3CFF FFFEFFFF
	s_and_b32 s61, 0xfffeffff, s61                             // 000000009D00: 863D3DFF FFFEFFFF
	v_cndmask_b32_e64 v67, v67, v178, s[60:61]                 // 000000009D08: D1000043 00F36543
	s_branch label_1780                                        // 000000009D10: BF820020

0000000000009d14 <label_1760>:
	v_mov_b32_e32 v64, v178                                    // 000000009D14: 7E8003B2
	v_mov_b32_e32 v65, v178                                    // 000000009D18: 7E8203B2
	v_mov_b32_e32 v66, v178                                    // 000000009D1C: 7E8403B2
	v_mov_b32_e32 v67, v178                                    // 000000009D20: 7E8603B2
	s_branch label_1780                                        // 000000009D24: BF82001B

0000000000009d28 <label_1765>:
	v_cndmask_b32_e64 v68, v68, v178, s[60:61]                 // 000000009D28: D1000044 00F36544
	s_lshl_b32 s60, s60, 1                                     // 000000009D30: 8E3C813C
	s_lshl_b32 s61, s61, 1                                     // 000000009D34: 8E3D813D
	s_and_b32 s60, 0xfffeffff, s60                             // 000000009D38: 863C3CFF FFFEFFFF
	s_and_b32 s61, 0xfffeffff, s61                             // 000000009D40: 863D3DFF FFFEFFFF
	v_cndmask_b32_e64 v69, v69, v178, s[60:61]                 // 000000009D48: D1000045 00F36545
	s_lshl_b32 s60, s60, 1                                     // 000000009D50: 8E3C813C
	s_lshl_b32 s61, s61, 1                                     // 000000009D54: 8E3D813D
	s_and_b32 s60, 0xfffeffff, s60                             // 000000009D58: 863C3CFF FFFEFFFF
	s_and_b32 s61, 0xfffeffff, s61                             // 000000009D60: 863D3DFF FFFEFFFF
	v_cndmask_b32_e64 v70, v70, v178, s[60:61]                 // 000000009D68: D1000046 00F36546
	s_lshl_b32 s60, s60, 1                                     // 000000009D70: 8E3C813C
	s_lshl_b32 s61, s61, 1                                     // 000000009D74: 8E3D813D
	s_and_b32 s60, 0xfffeffff, s60                             // 000000009D78: 863C3CFF FFFEFFFF
	s_and_b32 s61, 0xfffeffff, s61                             // 000000009D80: 863D3DFF FFFEFFFF
	v_cndmask_b32_e64 v71, v71, v178, s[60:61]                 // 000000009D88: D1000047 00F36547
	s_branch label_17A0                                        // 000000009D90: BF820020

0000000000009d94 <label_1780>:
	v_mov_b32_e32 v68, v178                                    // 000000009D94: 7E8803B2
	v_mov_b32_e32 v69, v178                                    // 000000009D98: 7E8A03B2
	v_mov_b32_e32 v70, v178                                    // 000000009D9C: 7E8C03B2
	v_mov_b32_e32 v71, v178                                    // 000000009DA0: 7E8E03B2
	s_branch label_17A0                                        // 000000009DA4: BF82001B

0000000000009da8 <label_1785>:
	v_cndmask_b32_e64 v72, v72, v178, s[60:61]                 // 000000009DA8: D1000048 00F36548
	s_lshl_b32 s60, s60, 1                                     // 000000009DB0: 8E3C813C
	s_lshl_b32 s61, s61, 1                                     // 000000009DB4: 8E3D813D
	s_and_b32 s60, 0xfffeffff, s60                             // 000000009DB8: 863C3CFF FFFEFFFF
	s_and_b32 s61, 0xfffeffff, s61                             // 000000009DC0: 863D3DFF FFFEFFFF
	v_cndmask_b32_e64 v73, v73, v178, s[60:61]                 // 000000009DC8: D1000049 00F36549
	s_lshl_b32 s60, s60, 1                                     // 000000009DD0: 8E3C813C
	s_lshl_b32 s61, s61, 1                                     // 000000009DD4: 8E3D813D
	s_and_b32 s60, 0xfffeffff, s60                             // 000000009DD8: 863C3CFF FFFEFFFF
	s_and_b32 s61, 0xfffeffff, s61                             // 000000009DE0: 863D3DFF FFFEFFFF
	v_cndmask_b32_e64 v74, v74, v178, s[60:61]                 // 000000009DE8: D100004A 00F3654A
	s_lshl_b32 s60, s60, 1                                     // 000000009DF0: 8E3C813C
	s_lshl_b32 s61, s61, 1                                     // 000000009DF4: 8E3D813D
	s_and_b32 s60, 0xfffeffff, s60                             // 000000009DF8: 863C3CFF FFFEFFFF
	s_and_b32 s61, 0xfffeffff, s61                             // 000000009E00: 863D3DFF FFFEFFFF
	v_cndmask_b32_e64 v75, v75, v178, s[60:61]                 // 000000009E08: D100004B 00F3654B
	s_branch label_17A5                                        // 000000009E10: BF820005

0000000000009e14 <label_17A0>:
	v_mov_b32_e32 v72, v178                                    // 000000009E14: 7E9003B2
	v_mov_b32_e32 v73, v178                                    // 000000009E18: 7E9203B2
	v_mov_b32_e32 v74, v178                                    // 000000009E1C: 7E9403B2
	v_mov_b32_e32 v75, v178                                    // 000000009E20: 7E9603B2
	s_branch label_17A5                                        // 000000009E24: BF820000

0000000000009e28 <label_17A5>:
	s_cmp_lt_i32 s84, 0xc0                                     // 000000009E28: BF04FF54 000000C0
	s_cbranch_scc0 label_181E                                  // 000000009E30: BF84006D
	s_cmp_le_i32 s84, 64                                       // 000000009E34: BF05C054
	s_cbranch_scc1 label_17B1                                  // 000000009E38: BF850007
	s_cmp_le_i32 s84, 0x80                                     // 000000009E3C: BF05FF54 00000080
	s_cbranch_scc1 label_17D5                                  // 000000009E44: BF85001F
	s_cmp_lt_i32 s84, 0xc0                                     // 000000009E48: BF04FF54 000000C0
	s_cbranch_scc1 label_17F9                                  // 000000009E50: BF850040
	s_branch label_181E                                        // 000000009E54: BF820064

0000000000009e58 <label_17B1>:
	s_mov_b32 s60, 0                                           // 000000009E58: BEBC0080
	v_and_b32_e32 v32, 15, v0                                  // 000000009E5C: 2640008F
	v_add_u32_e64 v32, v32, s60                                // 000000009E60: D1340020 00007920
	v_mul_i32_i24_e64 v33, s46, 16                             // 000000009E68: D1060021 0001202E
	v_add_u32_e32 v32, v32, v33                                // 000000009E70: 68404320
	v_cmp_lt_u32_e64 s[60:61], v32, s84                        // 000000009E74: D0C9003C 0000A920
	s_nop 1                                                    // 000000009E7C: BF800001
	v_cndmask_b32_e64 v52, v178, v52, s[60:61]                 // 000000009E80: D1000034 00F269B2
	v_cndmask_b32_e64 v64, v178, v64, s[60:61]                 // 000000009E88: D1000040 00F281B2
	v_cndmask_b32_e64 v53, v178, v53, s[60:61]                 // 000000009E90: D1000035 00F26BB2
	v_cndmask_b32_e64 v65, v178, v65, s[60:61]                 // 000000009E98: D1000041 00F283B2
	v_cndmask_b32_e64 v54, v178, v54, s[60:61]                 // 000000009EA0: D1000036 00F26DB2
	v_cndmask_b32_e64 v66, v178, v66, s[60:61]                 // 000000009EA8: D1000042 00F285B2
	v_cndmask_b32_e64 v55, v178, v55, s[60:61]                 // 000000009EB0: D1000037 00F26FB2
	v_cndmask_b32_e64 v67, v178, v67, s[60:61]                 // 000000009EB8: D1000043 00F287B2
	s_branch label_17F0                                        // 000000009EC0: BF82001B

0000000000009ec4 <label_17D5>:
	s_mov_b32 s60, 64                                          // 000000009EC4: BEBC00C0
	v_and_b32_e32 v32, 15, v0                                  // 000000009EC8: 2640008F
	v_add_u32_e64 v32, v32, s60                                // 000000009ECC: D1340020 00007920
	v_mul_i32_i24_e64 v33, s46, 16                             // 000000009ED4: D1060021 0001202E
	v_add_u32_e32 v32, v32, v33                                // 000000009EDC: 68404320
	v_cmp_lt_u32_e64 s[60:61], v32, s84                        // 000000009EE0: D0C9003C 0000A920
	s_nop 1                                                    // 000000009EE8: BF800001
	v_cndmask_b32_e64 v56, v178, v56, s[60:61]                 // 000000009EEC: D1000038 00F271B2
	v_cndmask_b32_e64 v68, v178, v68, s[60:61]                 // 000000009EF4: D1000044 00F289B2
	v_cndmask_b32_e64 v57, v178, v57, s[60:61]                 // 000000009EFC: D1000039 00F273B2
	v_cndmask_b32_e64 v69, v178, v69, s[60:61]                 // 000000009F04: D1000045 00F28BB2
	v_cndmask_b32_e64 v58, v178, v58, s[60:61]                 // 000000009F0C: D100003A 00F275B2
	v_cndmask_b32_e64 v70, v178, v70, s[60:61]                 // 000000009F14: D1000046 00F28DB2
	v_cndmask_b32_e64 v59, v178, v59, s[60:61]                 // 000000009F1C: D100003B 00F277B2
	v_cndmask_b32_e64 v71, v178, v71, s[60:61]                 // 000000009F24: D1000047 00F28FB2
	s_branch label_1815                                        // 000000009F2C: BF820025

0000000000009f30 <label_17F0>:
	v_mov_b32_e32 v56, v178                                    // 000000009F30: 7E7003B2
	v_mov_b32_e32 v68, v178                                    // 000000009F34: 7E8803B2
	v_mov_b32_e32 v57, v178                                    // 000000009F38: 7E7203B2
	v_mov_b32_e32 v69, v178                                    // 000000009F3C: 7E8A03B2
	v_mov_b32_e32 v58, v178                                    // 000000009F40: 7E7403B2
	v_mov_b32_e32 v70, v178                                    // 000000009F44: 7E8C03B2
	v_mov_b32_e32 v59, v178                                    // 000000009F48: 7E7603B2
	v_mov_b32_e32 v71, v178                                    // 000000009F4C: 7E8E03B2
	s_branch label_1815                                        // 000000009F50: BF82001C

0000000000009f54 <label_17F9>:
	s_mov_b32 s60, 0x80                                        // 000000009F54: BEBC00FF 00000080
	v_and_b32_e32 v32, 15, v0                                  // 000000009F5C: 2640008F
	v_add_u32_e64 v32, v32, s60                                // 000000009F60: D1340020 00007920
	v_mul_i32_i24_e64 v33, s46, 16                             // 000000009F68: D1060021 0001202E
	v_add_u32_e32 v32, v32, v33                                // 000000009F70: 68404320
	v_cmp_lt_u32_e64 s[60:61], v32, s84                        // 000000009F74: D0C9003C 0000A920
	s_nop 1                                                    // 000000009F7C: BF800001
	v_cndmask_b32_e64 v60, v178, v60, s[60:61]                 // 000000009F80: D100003C 00F279B2
	v_cndmask_b32_e64 v72, v178, v72, s[60:61]                 // 000000009F88: D1000048 00F291B2
	v_cndmask_b32_e64 v61, v178, v61, s[60:61]                 // 000000009F90: D100003D 00F27BB2
	v_cndmask_b32_e64 v73, v178, v73, s[60:61]                 // 000000009F98: D1000049 00F293B2
	v_cndmask_b32_e64 v62, v178, v62, s[60:61]                 // 000000009FA0: D100003E 00F27DB2
	v_cndmask_b32_e64 v74, v178, v74, s[60:61]                 // 000000009FA8: D100004A 00F295B2
	v_cndmask_b32_e64 v63, v178, v63, s[60:61]                 // 000000009FB0: D100003F 00F27FB2
	v_cndmask_b32_e64 v75, v178, v75, s[60:61]                 // 000000009FB8: D100004B 00F297B2
	s_branch label_181E                                        // 000000009FC0: BF820009

0000000000009fc4 <label_1815>:
	v_mov_b32_e32 v60, v178                                    // 000000009FC4: 7E7803B2
	v_mov_b32_e32 v72, v178                                    // 000000009FC8: 7E9003B2
	v_mov_b32_e32 v61, v178                                    // 000000009FCC: 7E7A03B2
	v_mov_b32_e32 v73, v178                                    // 000000009FD0: 7E9203B2
	v_mov_b32_e32 v62, v178                                    // 000000009FD4: 7E7C03B2
	v_mov_b32_e32 v74, v178                                    // 000000009FD8: 7E9403B2
	v_mov_b32_e32 v63, v178                                    // 000000009FDC: 7E7E03B2
	v_mov_b32_e32 v75, v178                                    // 000000009FE0: 7E9603B2
	s_branch label_181E                                        // 000000009FE4: BF820000

0000000000009fe8 <label_181E>:
	s_addk_i32 s74, 0x1                                        // 000000009FE8: B74A0001
	s_waitcnt lgkmcnt(8)                                       // 000000009FEC: BF8CC87F
	s_barrier                                                  // 000000009FF0: BF8A0000
	v_mfma_f32_16x16x16_bf16 v[76:79], v[108:109], a[72:73], 0 // 000000009FF4: D3E1004C 1202916C
	v_fma_f32 v52, v52, s57, -v140                             // 000000009FFC: D1CB0034 86307334
	v_fma_f32 v53, v53, s57, -v141                             // 00000000A004: D1CB0035 86347335
	v_fma_f32 v54, v54, s57, -v142                             // 00000000A00C: D1CB0036 86387336
	v_fma_f32 v55, v55, s57, -v143                             // 00000000A014: D1CB0037 863C7337
	v_fma_f32 v56, v56, s57, -v140                             // 00000000A01C: D1CB0038 86307338
	v_fma_f32 v57, v57, s57, -v141                             // 00000000A024: D1CB0039 86347339
	v_mfma_f32_16x16x16_bf16 v[76:79], v[110:111], a[74:75], v[76:79]// 00000000A02C: D3E1004C 1532956E
	ds_read_b128 a[96:99], v14 offset:4352                     // 00000000A034: DBFE1100 6000000E
	ds_read_b128 a[100:103], v14 offset:4864                   // 00000000A03C: DBFE1300 6400000E
	v_mfma_f32_16x16x16_bf16 v[76:79], v[112:113], a[76:77], v[76:79]// 00000000A044: D3E1004C 15329970
	v_fma_f32 v58, v58, s57, -v142                             // 00000000A04C: D1CB003A 8638733A
	v_fma_f32 v59, v59, s57, -v143                             // 00000000A054: D1CB003B 863C733B
	v_fma_f32 v60, v60, s57, -v140                             // 00000000A05C: D1CB003C 8630733C
	v_fma_f32 v61, v61, s57, -v141                             // 00000000A064: D1CB003D 8634733D
	v_fma_f32 v62, v62, s57, -v142                             // 00000000A06C: D1CB003E 8638733E
	v_fma_f32 v63, v63, s57, -v143                             // 00000000A074: D1CB003F 863C733F
	v_mfma_f32_16x16x16_bf16 v[76:79], v[114:115], a[78:79], v[76:79]// 00000000A07C: D3E1004C 15329D72
	v_fma_f32 v64, v64, s57, -v144                             // 00000000A084: D1CB0040 86407340
	v_fma_f32 v65, v65, s57, -v145                             // 00000000A08C: D1CB0041 86447341
	v_fma_f32 v66, v66, s57, -v146                             // 00000000A094: D1CB0042 86487342
	v_fma_f32 v67, v67, s57, -v147                             // 00000000A09C: D1CB0043 864C7343
	v_fma_f32 v68, v68, s57, -v144                             // 00000000A0A4: D1CB0044 86407344
	v_fma_f32 v69, v69, s57, -v145                             // 00000000A0AC: D1CB0045 86447345
	v_mfma_f32_16x16x16_bf16 v[80:83], v[108:109], a[80:81], 0 // 00000000A0B4: D3E10050 1202A16C
	v_fma_f32 v70, v70, s57, -v146                             // 00000000A0BC: D1CB0046 86487346
	v_fma_f32 v71, v71, s57, -v147                             // 00000000A0C4: D1CB0047 864C7347
	v_fma_f32 v72, v72, s57, -v144                             // 00000000A0CC: D1CB0048 86407348
	v_fma_f32 v73, v73, s57, -v145                             // 00000000A0D4: D1CB0049 86447349
	v_fma_f32 v74, v74, s57, -v146                             // 00000000A0DC: D1CB004A 8648734A
	v_fma_f32 v75, v75, s57, -v147                             // 00000000A0E4: D1CB004B 864C734B
	v_mfma_f32_16x16x16_bf16 v[80:83], v[110:111], a[82:83], v[80:83]// 00000000A0EC: D3E10050 1542A56E
	ds_read_b128 a[104:107], v14 offset:6528                   // 00000000A0F4: DBFE1980 6800000E
	ds_read_b128 a[108:111], v14 offset:7040                   // 00000000A0FC: DBFE1B80 6C00000E
	v_mfma_f32_16x16x16_bf16 v[80:83], v[112:113], a[84:85], v[80:83]// 00000000A104: D3E10050 1542A970
	v_exp_f32_e32 v52, v52                                     // 00000000A10C: 7E684134
	v_exp_f32_e32 v53, v53                                     // 00000000A110: 7E6A4135
	v_mfma_f32_16x16x16_bf16 v[80:83], v[114:115], a[86:87], v[80:83]// 00000000A114: D3E10050 1542AD72
	v_exp_f32_e32 v54, v54                                     // 00000000A11C: 7E6C4136
	v_exp_f32_e32 v55, v55                                     // 00000000A120: 7E6E4137
	v_mfma_f32_16x16x16_bf16 v[84:87], v[108:109], a[88:89], 0 // 00000000A124: D3E10054 1202B16C
	v_exp_f32_e32 v56, v56                                     // 00000000A12C: 7E704138
	v_exp_f32_e32 v57, v57                                     // 00000000A130: 7E724139
	v_mfma_f32_16x16x16_bf16 v[84:87], v[110:111], a[90:91], v[84:87]// 00000000A134: D3E10054 1552B56E
	ds_read_b64 v[156:157], v21 offset:31232                   // 00000000A13C: D8EC7A00 9C000015
	ds_read_b64 v[158:159], v21 offset:33280                   // 00000000A144: D8EC8200 9E000015
	v_mfma_f32_16x16x16_bf16 v[84:87], v[112:113], a[92:93], v[84:87]// 00000000A14C: D3E10054 1552B970
	v_exp_f32_e32 v58, v58                                     // 00000000A154: 7E74413A
	v_exp_f32_e32 v59, v59                                     // 00000000A158: 7E76413B
	v_mfma_f32_16x16x16_bf16 v[84:87], v[114:115], a[94:95], v[84:87]// 00000000A15C: D3E10054 1552BD72
	ds_read_b64 v[160:161], v21 offset:35328                   // 00000000A164: D8EC8A00 A0000015
	ds_read_b64 v[162:163], v21 offset:37376                   // 00000000A16C: D8EC9200 A2000015
	v_mfma_f32_16x16x16_bf16 v[88:91], v[116:117], a[72:73], 0 // 00000000A174: D3E10058 12029174
	v_exp_f32_e32 v60, v60                                     // 00000000A17C: 7E78413C
	v_exp_f32_e32 v61, v61                                     // 00000000A180: 7E7A413D
	v_mfma_f32_16x16x16_bf16 v[88:91], v[118:119], a[74:75], v[88:91]// 00000000A184: D3E10058 15629576
	v_exp_f32_e32 v62, v62                                     // 00000000A18C: 7E7C413E
	v_exp_f32_e32 v63, v63                                     // 00000000A190: 7E7E413F
	v_mfma_f32_16x16x16_bf16 v[88:91], v[120:121], a[76:77], v[88:91]// 00000000A194: D3E10058 15629978
	v_exp_f32_e32 v64, v64                                     // 00000000A19C: 7E804140
	v_exp_f32_e32 v65, v65                                     // 00000000A1A0: 7E824141
	v_mfma_f32_16x16x16_bf16 v[88:91], v[122:123], a[78:79], v[88:91]// 00000000A1A4: D3E10058 15629D7A
	v_exp_f32_e32 v66, v66                                     // 00000000A1AC: 7E844142
	v_exp_f32_e32 v67, v67                                     // 00000000A1B0: 7E864143
	v_mfma_f32_16x16x16_bf16 v[92:95], v[116:117], a[80:81], 0 // 00000000A1B4: D3E1005C 1202A174
	v_exp_f32_e32 v68, v68                                     // 00000000A1BC: 7E884144
	v_exp_f32_e32 v69, v69                                     // 00000000A1C0: 7E8A4145
	v_mfma_f32_16x16x16_bf16 v[92:95], v[118:119], a[82:83], v[92:95]// 00000000A1C4: D3E1005C 1572A576
	v_exp_f32_e32 v70, v70                                     // 00000000A1CC: 7E8C4146
	v_exp_f32_e32 v71, v71                                     // 00000000A1D0: 7E8E4147
	v_mfma_f32_16x16x16_bf16 v[92:95], v[120:121], a[84:85], v[92:95]// 00000000A1D4: D3E1005C 1572A978
	v_exp_f32_e32 v72, v72                                     // 00000000A1DC: 7E904148
	v_exp_f32_e32 v73, v73                                     // 00000000A1E0: 7E924149
	v_mfma_f32_16x16x16_bf16 v[92:95], v[122:123], a[86:87], v[92:95]// 00000000A1E4: D3E1005C 1572AD7A
	v_exp_f32_e32 v74, v74                                     // 00000000A1EC: 7E94414A
	v_exp_f32_e32 v75, v75                                     // 00000000A1F0: 7E96414B
	v_mfma_f32_16x16x16_bf16 v[96:99], v[116:117], a[88:89], 0 // 00000000A1F4: D3E10060 1202B174
	v_cmp_u_f32_e64 s[78:79], v52, v52                         // 00000000A1FC: D048004E 00026934
	v_add3_u32 v228, v52, v231, 1                              // 00000000A204: D1FF00E4 0207CF34
	v_cndmask_b32_e64 v32, v228, v230, s[78:79]                // 00000000A20C: D1000020 013BCDE4
	v_cmp_u_f32_e64 s[78:79], v53, v53                         // 00000000A214: D048004E 00026B35
	v_add3_u32 v228, v53, v231, 1                              // 00000000A21C: D1FF00E4 0207CF35
	v_cndmask_b32_e64 v33, v228, v230, s[78:79]                // 00000000A224: D1000021 013BCDE4
	v_perm_b32 v164, v33, v32, s64                             // 00000000A22C: D1ED00A4 01024121
	v_cmp_u_f32_e64 s[78:79], v54, v54                         // 00000000A234: D048004E 00026D36
	v_add3_u32 v228, v54, v231, 1                              // 00000000A23C: D1FF00E4 0207CF36
	v_cndmask_b32_e64 v32, v228, v230, s[78:79]                // 00000000A244: D1000020 013BCDE4
	v_cmp_u_f32_e64 s[78:79], v55, v55                         // 00000000A24C: D048004E 00026F37
	v_add3_u32 v228, v55, v231, 1                              // 00000000A254: D1FF00E4 0207CF37
	v_cndmask_b32_e64 v33, v228, v230, s[78:79]                // 00000000A25C: D1000021 013BCDE4
	v_perm_b32 v165, v33, v32, s64                             // 00000000A264: D1ED00A5 01024121
	v_cmp_u_f32_e64 s[78:79], v56, v56                         // 00000000A26C: D048004E 00027138
	v_add3_u32 v228, v56, v231, 1                              // 00000000A274: D1FF00E4 0207CF38
	v_cndmask_b32_e64 v32, v228, v230, s[78:79]                // 00000000A27C: D1000020 013BCDE4
	v_cmp_u_f32_e64 s[78:79], v57, v57                         // 00000000A284: D048004E 00027339
	v_add3_u32 v228, v57, v231, 1                              // 00000000A28C: D1FF00E4 0207CF39
	v_cndmask_b32_e64 v33, v228, v230, s[78:79]                // 00000000A294: D1000021 013BCDE4
	v_perm_b32 v166, v33, v32, s64                             // 00000000A29C: D1ED00A6 01024121
	v_cmp_u_f32_e64 s[78:79], v58, v58                         // 00000000A2A4: D048004E 0002753A
	v_add3_u32 v228, v58, v231, 1                              // 00000000A2AC: D1FF00E4 0207CF3A
	v_cndmask_b32_e64 v32, v228, v230, s[78:79]                // 00000000A2B4: D1000020 013BCDE4
	v_cmp_u_f32_e64 s[78:79], v59, v59                         // 00000000A2BC: D048004E 0002773B
	v_add3_u32 v228, v59, v231, 1                              // 00000000A2C4: D1FF00E4 0207CF3B
	v_cndmask_b32_e64 v33, v228, v230, s[78:79]                // 00000000A2CC: D1000021 013BCDE4
	v_perm_b32 v167, v33, v32, s64                             // 00000000A2D4: D1ED00A7 01024121
	v_cmp_u_f32_e64 s[78:79], v60, v60                         // 00000000A2DC: D048004E 0002793C
	v_add3_u32 v228, v60, v231, 1                              // 00000000A2E4: D1FF00E4 0207CF3C
	v_cndmask_b32_e64 v32, v228, v230, s[78:79]                // 00000000A2EC: D1000020 013BCDE4
	v_cmp_u_f32_e64 s[78:79], v61, v61                         // 00000000A2F4: D048004E 00027B3D
	v_add3_u32 v228, v61, v231, 1                              // 00000000A2FC: D1FF00E4 0207CF3D
	v_cndmask_b32_e64 v33, v228, v230, s[78:79]                // 00000000A304: D1000021 013BCDE4
	v_perm_b32 v168, v33, v32, s64                             // 00000000A30C: D1ED00A8 01024121
	v_cmp_u_f32_e64 s[78:79], v62, v62                         // 00000000A314: D048004E 00027D3E
	v_add3_u32 v228, v62, v231, 1                              // 00000000A31C: D1FF00E4 0207CF3E
	v_cndmask_b32_e64 v32, v228, v230, s[78:79]                // 00000000A324: D1000020 013BCDE4
	v_cmp_u_f32_e64 s[78:79], v63, v63                         // 00000000A32C: D048004E 00027F3F
	v_add3_u32 v228, v63, v231, 1                              // 00000000A334: D1FF00E4 0207CF3F
	v_cndmask_b32_e64 v33, v228, v230, s[78:79]                // 00000000A33C: D1000021 013BCDE4
	v_perm_b32 v169, v33, v32, s64                             // 00000000A344: D1ED00A9 01024121
	v_mfma_f32_16x16x16_bf16 v[96:99], v[118:119], a[90:91], v[96:99]// 00000000A34C: D3E10060 1582B576
	v_cmp_u_f32_e64 s[78:79], v64, v64                         // 00000000A354: D048004E 00028140
	v_add3_u32 v228, v64, v231, 1                              // 00000000A35C: D1FF00E4 0207CF40
	v_cndmask_b32_e64 v32, v228, v230, s[78:79]                // 00000000A364: D1000020 013BCDE4
	v_cmp_u_f32_e64 s[78:79], v65, v65                         // 00000000A36C: D048004E 00028341
	v_add3_u32 v228, v65, v231, 1                              // 00000000A374: D1FF00E4 0207CF41
	v_cndmask_b32_e64 v33, v228, v230, s[78:79]                // 00000000A37C: D1000021 013BCDE4
	v_perm_b32 v170, v33, v32, s64                             // 00000000A384: D1ED00AA 01024121
	v_cmp_u_f32_e64 s[78:79], v66, v66                         // 00000000A38C: D048004E 00028542
	v_add3_u32 v228, v66, v231, 1                              // 00000000A394: D1FF00E4 0207CF42
	v_cndmask_b32_e64 v32, v228, v230, s[78:79]                // 00000000A39C: D1000020 013BCDE4
	v_cmp_u_f32_e64 s[78:79], v67, v67                         // 00000000A3A4: D048004E 00028743
	v_add3_u32 v228, v67, v231, 1                              // 00000000A3AC: D1FF00E4 0207CF43
	v_cndmask_b32_e64 v33, v228, v230, s[78:79]                // 00000000A3B4: D1000021 013BCDE4
	v_perm_b32 v171, v33, v32, s64                             // 00000000A3BC: D1ED00AB 01024121
	v_cmp_u_f32_e64 s[78:79], v68, v68                         // 00000000A3C4: D048004E 00028944
	v_add3_u32 v228, v68, v231, 1                              // 00000000A3CC: D1FF00E4 0207CF44
	v_cndmask_b32_e64 v32, v228, v230, s[78:79]                // 00000000A3D4: D1000020 013BCDE4
	v_cmp_u_f32_e64 s[78:79], v69, v69                         // 00000000A3DC: D048004E 00028B45
	v_add3_u32 v228, v69, v231, 1                              // 00000000A3E4: D1FF00E4 0207CF45
	v_cndmask_b32_e64 v33, v228, v230, s[78:79]                // 00000000A3EC: D1000021 013BCDE4
	v_perm_b32 v172, v33, v32, s64                             // 00000000A3F4: D1ED00AC 01024121
	v_cmp_u_f32_e64 s[78:79], v70, v70                         // 00000000A3FC: D048004E 00028D46
	v_add3_u32 v228, v70, v231, 1                              // 00000000A404: D1FF00E4 0207CF46
	v_cndmask_b32_e64 v32, v228, v230, s[78:79]                // 00000000A40C: D1000020 013BCDE4
	v_cmp_u_f32_e64 s[78:79], v71, v71                         // 00000000A414: D048004E 00028F47
	v_add3_u32 v228, v71, v231, 1                              // 00000000A41C: D1FF00E4 0207CF47
	v_cndmask_b32_e64 v33, v228, v230, s[78:79]                // 00000000A424: D1000021 013BCDE4
	v_perm_b32 v173, v33, v32, s64                             // 00000000A42C: D1ED00AD 01024121
	v_cmp_u_f32_e64 s[78:79], v72, v72                         // 00000000A434: D048004E 00029148
	v_add3_u32 v228, v72, v231, 1                              // 00000000A43C: D1FF00E4 0207CF48
	v_cndmask_b32_e64 v32, v228, v230, s[78:79]                // 00000000A444: D1000020 013BCDE4
	v_cmp_u_f32_e64 s[78:79], v73, v73                         // 00000000A44C: D048004E 00029349
	v_add3_u32 v228, v73, v231, 1                              // 00000000A454: D1FF00E4 0207CF49
	v_cndmask_b32_e64 v33, v228, v230, s[78:79]                // 00000000A45C: D1000021 013BCDE4
	v_perm_b32 v174, v33, v32, s64                             // 00000000A464: D1ED00AE 01024121
	v_cmp_u_f32_e64 s[78:79], v74, v74                         // 00000000A46C: D048004E 0002954A
	v_add3_u32 v228, v74, v231, 1                              // 00000000A474: D1FF00E4 0207CF4A
	v_cndmask_b32_e64 v32, v228, v230, s[78:79]                // 00000000A47C: D1000020 013BCDE4
	v_cmp_u_f32_e64 s[78:79], v75, v75                         // 00000000A484: D048004E 0002974B
	v_add3_u32 v228, v75, v231, 1                              // 00000000A48C: D1FF00E4 0207CF4B
	v_cndmask_b32_e64 v33, v228, v230, s[78:79]                // 00000000A494: D1000021 013BCDE4
	v_perm_b32 v175, v33, v32, s64                             // 00000000A49C: D1ED00AF 01024121
	v_mfma_f32_16x16x16_bf16 v[96:99], v[120:121], a[92:93], v[96:99]// 00000000A4A4: D3E10060 1582B978
	v_add_u32_e32 v6, s66, v6                                  // 00000000A4AC: 680C0C42
	v_add_u32_e32 v7, s66, v7                                  // 00000000A4B0: 680E0E42
	v_add_u32_e32 v8, s66, v8                                  // 00000000A4B4: 68101042
	v_add_u32_e32 v9, s66, v9                                  // 00000000A4B8: 68121242
	v_mfma_f32_16x16x16_bf16 v[96:99], v[122:123], a[94:95], v[96:99]// 00000000A4BC: D3E10060 1582BD7A
	s_waitcnt lgkmcnt(0)                                       // 00000000A4C4: BF8CC07F
	s_barrier                                                  // 00000000A4C8: BF8A0000
	v_mfma_f32_16x16x16_bf16 v[180:183], v[124:125], v[164:165], v[180:183]// 00000000A4CC: D3E100B4 06D3497C
	v_subrev_f32_dpp v76, v176, v76 quad_perm:[0,0,0,0] row_mask:0xf bank_mask:0xf// 00000000A4D4: 069898FA FF0000B0
	v_subrev_f32_dpp v77, v176, v77 quad_perm:[1,1,1,1] row_mask:0xf bank_mask:0xf// 00000000A4DC: 069A9AFA FF0055B0
	v_subrev_f32_dpp v78, v176, v78 quad_perm:[2,2,2,2] row_mask:0xf bank_mask:0xf// 00000000A4E4: 069C9CFA FF00AAB0
	v_subrev_f32_dpp v79, v176, v79 quad_perm:[3,3,3,3] row_mask:0xf bank_mask:0xf// 00000000A4EC: 069E9EFA FF00FFB0
	v_subrev_f32_dpp v80, v176, v80 quad_perm:[0,0,0,0] row_mask:0xf bank_mask:0xf// 00000000A4F4: 06A0A0FA FF0000B0
	v_subrev_f32_dpp v81, v176, v81 quad_perm:[1,1,1,1] row_mask:0xf bank_mask:0xf// 00000000A4FC: 06A2A2FA FF0055B0
	v_mfma_f32_16x16x16_bf16 v[184:187], v[126:127], v[164:165], v[184:187]// 00000000A504: D3E100B8 06E3497E
	v_subrev_f32_dpp v82, v176, v82 quad_perm:[2,2,2,2] row_mask:0xf bank_mask:0xf// 00000000A50C: 06A4A4FA FF00AAB0
	v_subrev_f32_dpp v83, v176, v83 quad_perm:[3,3,3,3] row_mask:0xf bank_mask:0xf// 00000000A514: 06A6A6FA FF00FFB0
	v_subrev_f32_dpp v84, v176, v84 quad_perm:[0,0,0,0] row_mask:0xf bank_mask:0xf// 00000000A51C: 06A8A8FA FF0000B0
	v_subrev_f32_dpp v85, v176, v85 quad_perm:[1,1,1,1] row_mask:0xf bank_mask:0xf// 00000000A524: 06AAAAFA FF0055B0
	v_subrev_f32_dpp v86, v176, v86 quad_perm:[2,2,2,2] row_mask:0xf bank_mask:0xf// 00000000A52C: 06ACACFA FF00AAB0
	v_subrev_f32_dpp v87, v176, v87 quad_perm:[3,3,3,3] row_mask:0xf bank_mask:0xf// 00000000A534: 06AEAEFA FF00FFB0
	v_mfma_f32_16x16x16_bf16 v[188:191], v[128:129], v[164:165], v[188:191]// 00000000A53C: D3E100BC 06F34980
	v_mul_f32_e32 v76, v52, v76                                // 00000000A544: 0A989934
	v_mul_f32_e32 v77, v53, v77                                // 00000000A548: 0A9A9B35
	v_mul_f32_e32 v78, v54, v78                                // 00000000A54C: 0A9C9D36
	v_mul_f32_e32 v79, v55, v79                                // 00000000A550: 0A9E9F37
	v_mul_f32_e32 v80, v56, v80                                // 00000000A554: 0AA0A138
	v_mul_f32_e32 v81, v57, v81                                // 00000000A558: 0AA2A339
	v_mfma_f32_16x16x16_bf16 v[192:195], v[130:131], v[164:165], v[192:195]// 00000000A55C: D3E100C0 07034982
	v_mul_f32_e32 v82, v58, v82                                // 00000000A564: 0AA4A53A
	v_mul_f32_e32 v83, v59, v83                                // 00000000A568: 0AA6A73B
	v_mul_f32_e32 v84, v60, v84                                // 00000000A56C: 0AA8A93C
	v_mul_f32_e32 v85, v61, v85                                // 00000000A570: 0AAAAB3D
	v_mul_f32_e32 v86, v62, v86                                // 00000000A574: 0AACAD3E
	v_mul_f32_e32 v87, v63, v87                                // 00000000A578: 0AAEAF3F
	v_mfma_f32_16x16x16_bf16 v[196:199], v[124:125], v[166:167], v[196:199]// 00000000A57C: D3E100C4 07134D7C
	v_cmp_u_f32_e64 s[78:79], v76, v76                         // 00000000A584: D048004E 0002994C
	v_add3_u32 v228, v76, v231, 1                              // 00000000A58C: D1FF00E4 0207CF4C
	v_cndmask_b32_e64 v32, v228, v230, s[78:79]                // 00000000A594: D1000020 013BCDE4
	v_cmp_u_f32_e64 s[78:79], v77, v77                         // 00000000A59C: D048004E 00029B4D
	v_add3_u32 v228, v77, v231, 1                              // 00000000A5A4: D1FF00E4 0207CF4D
	v_cndmask_b32_e64 v33, v228, v230, s[78:79]                // 00000000A5AC: D1000021 013BCDE4
	v_perm_b32 v76, v33, v32, s64                              // 00000000A5B4: D1ED004C 01024121
	v_cmp_u_f32_e64 s[78:79], v78, v78                         // 00000000A5BC: D048004E 00029D4E
	v_add3_u32 v228, v78, v231, 1                              // 00000000A5C4: D1FF00E4 0207CF4E
	v_cndmask_b32_e64 v32, v228, v230, s[78:79]                // 00000000A5CC: D1000020 013BCDE4
	v_cmp_u_f32_e64 s[78:79], v79, v79                         // 00000000A5D4: D048004E 00029F4F
	v_add3_u32 v228, v79, v231, 1                              // 00000000A5DC: D1FF00E4 0207CF4F
	v_cndmask_b32_e64 v33, v228, v230, s[78:79]                // 00000000A5E4: D1000021 013BCDE4
	v_perm_b32 v77, v33, v32, s64                              // 00000000A5EC: D1ED004D 01024121
	v_cmp_u_f32_e64 s[78:79], v80, v80                         // 00000000A5F4: D048004E 0002A150
	v_add3_u32 v228, v80, v231, 1                              // 00000000A5FC: D1FF00E4 0207CF50
	v_cndmask_b32_e64 v32, v228, v230, s[78:79]                // 00000000A604: D1000020 013BCDE4
	v_cmp_u_f32_e64 s[78:79], v81, v81                         // 00000000A60C: D048004E 0002A351
	v_add3_u32 v228, v81, v231, 1                              // 00000000A614: D1FF00E4 0207CF51
	v_cndmask_b32_e64 v33, v228, v230, s[78:79]                // 00000000A61C: D1000021 013BCDE4
	v_perm_b32 v78, v33, v32, s64                              // 00000000A624: D1ED004E 01024121
	v_cmp_u_f32_e64 s[78:79], v82, v82                         // 00000000A62C: D048004E 0002A552
	v_add3_u32 v228, v82, v231, 1                              // 00000000A634: D1FF00E4 0207CF52
	v_cndmask_b32_e64 v32, v228, v230, s[78:79]                // 00000000A63C: D1000020 013BCDE4
	v_cmp_u_f32_e64 s[78:79], v83, v83                         // 00000000A644: D048004E 0002A753
	v_add3_u32 v228, v83, v231, 1                              // 00000000A64C: D1FF00E4 0207CF53
	v_cndmask_b32_e64 v33, v228, v230, s[78:79]                // 00000000A654: D1000021 013BCDE4
	v_perm_b32 v79, v33, v32, s64                              // 00000000A65C: D1ED004F 01024121
	v_cmp_u_f32_e64 s[78:79], v84, v84                         // 00000000A664: D048004E 0002A954
	v_add3_u32 v228, v84, v231, 1                              // 00000000A66C: D1FF00E4 0207CF54
	v_cndmask_b32_e64 v32, v228, v230, s[78:79]                // 00000000A674: D1000020 013BCDE4
	v_cmp_u_f32_e64 s[78:79], v85, v85                         // 00000000A67C: D048004E 0002AB55
	v_add3_u32 v228, v85, v231, 1                              // 00000000A684: D1FF00E4 0207CF55
	v_cndmask_b32_e64 v33, v228, v230, s[78:79]                // 00000000A68C: D1000021 013BCDE4
	v_perm_b32 v80, v33, v32, s64                              // 00000000A694: D1ED0050 01024121
	v_cmp_u_f32_e64 s[78:79], v86, v86                         // 00000000A69C: D048004E 0002AD56
	v_add3_u32 v228, v86, v231, 1                              // 00000000A6A4: D1FF00E4 0207CF56
	v_cndmask_b32_e64 v32, v228, v230, s[78:79]                // 00000000A6AC: D1000020 013BCDE4
	v_cmp_u_f32_e64 s[78:79], v87, v87                         // 00000000A6B4: D048004E 0002AF57
	v_add3_u32 v228, v87, v231, 1                              // 00000000A6BC: D1FF00E4 0207CF57
	v_cndmask_b32_e64 v33, v228, v230, s[78:79]                // 00000000A6C4: D1000021 013BCDE4
	v_perm_b32 v81, v33, v32, s64                              // 00000000A6CC: D1ED0051 01024121
	v_mfma_f32_16x16x16_bf16 v[200:203], v[126:127], v[166:167], v[200:203]// 00000000A6D4: D3E100C8 07234D7E
	v_mov_b32_dpp v18, v76 quad_perm:[1,0,3,2] row_mask:0xf bank_mask:0xf// 00000000A6DC: 7E2402FA FF00B14C
	v_perm_b32 v52, v18, v76, v17                              // 00000000A6E4: D1ED0034 04469912
	v_mov_b32_dpp v18, v77 quad_perm:[1,0,3,2] row_mask:0xf bank_mask:0xf// 00000000A6EC: 7E2402FA FF00B14D
	v_perm_b32 v53, v18, v77, v17                              // 00000000A6F4: D1ED0035 04469B12
	v_mov_b32_dpp v18, v78 quad_perm:[1,0,3,2] row_mask:0xf bank_mask:0xf// 00000000A6FC: 7E2402FA FF00B14E
	v_perm_b32 v54, v18, v78, v17                              // 00000000A704: D1ED0036 04469D12
	v_mfma_f32_16x16x16_bf16 v[204:207], v[128:129], v[166:167], v[204:207]// 00000000A70C: D3E100CC 07334D80
	ds_write_b32 v20, v52 offset:17408                         // 00000000A714: D81A4400 00003414
	ds_write_b32 v20, v53 offset:17952                         // 00000000A71C: D81A4620 00003514
	v_mfma_f32_16x16x16_bf16 v[208:211], v[130:131], v[166:167], v[208:211]// 00000000A724: D3E100D0 07434D82
	v_mov_b32_dpp v18, v79 quad_perm:[1,0,3,2] row_mask:0xf bank_mask:0xf// 00000000A72C: 7E2402FA FF00B14F
	v_perm_b32 v55, v18, v79, v17                              // 00000000A734: D1ED0037 04469F12
	v_mov_b32_dpp v18, v80 quad_perm:[1,0,3,2] row_mask:0xf bank_mask:0xf// 00000000A73C: 7E2402FA FF00B150
	v_perm_b32 v56, v18, v80, v17                              // 00000000A744: D1ED0038 0446A112
	v_mov_b32_dpp v18, v81 quad_perm:[1,0,3,2] row_mask:0xf bank_mask:0xf// 00000000A74C: 7E2402FA FF00B151
	v_perm_b32 v57, v18, v81, v17                              // 00000000A754: D1ED0039 0446A312
	v_mfma_f32_16x16x16_bf16 v[212:215], v[124:125], v[168:169], v[212:215]// 00000000A75C: D3E100D4 0753517C
	ds_write_b32 v20, v54 offset:19712                         // 00000000A764: D81A4D00 00003614
	ds_write_b32 v20, v55 offset:20256                         // 00000000A76C: D81A4F20 00003714
	v_mfma_f32_16x16x16_bf16 v[216:219], v[126:127], v[168:169], v[216:219]// 00000000A774: D3E100D8 0763517E
	v_subrev_f32_dpp v88, v177, v88 quad_perm:[0,0,0,0] row_mask:0xf bank_mask:0xf// 00000000A77C: 06B0B0FA FF0000B1
	v_subrev_f32_dpp v89, v177, v89 quad_perm:[1,1,1,1] row_mask:0xf bank_mask:0xf// 00000000A784: 06B2B2FA FF0055B1
	v_subrev_f32_dpp v90, v177, v90 quad_perm:[2,2,2,2] row_mask:0xf bank_mask:0xf// 00000000A78C: 06B4B4FA FF00AAB1
	v_subrev_f32_dpp v91, v177, v91 quad_perm:[3,3,3,3] row_mask:0xf bank_mask:0xf// 00000000A794: 06B6B6FA FF00FFB1
	v_subrev_f32_dpp v92, v177, v92 quad_perm:[0,0,0,0] row_mask:0xf bank_mask:0xf// 00000000A79C: 06B8B8FA FF0000B1
	v_subrev_f32_dpp v93, v177, v93 quad_perm:[1,1,1,1] row_mask:0xf bank_mask:0xf// 00000000A7A4: 06BABAFA FF0055B1
	v_mfma_f32_16x16x16_bf16 v[220:223], v[128:129], v[168:169], v[220:223]// 00000000A7AC: D3E100DC 07735180
	ds_write_b32 v20, v56 offset:22016                         // 00000000A7B4: D81A5600 00003814
	ds_write_b32 v20, v57 offset:22560                         // 00000000A7BC: D81A5820 00003914
	v_mfma_f32_16x16x16_bf16 v[224:227], v[130:131], v[168:169], v[224:227]// 00000000A7C4: D3E100E0 07835182
	v_subrev_f32_dpp v94, v177, v94 quad_perm:[2,2,2,2] row_mask:0xf bank_mask:0xf// 00000000A7CC: 06BCBCFA FF00AAB1
	v_subrev_f32_dpp v95, v177, v95 quad_perm:[3,3,3,3] row_mask:0xf bank_mask:0xf// 00000000A7D4: 06BEBEFA FF00FFB1
	v_subrev_f32_dpp v96, v177, v96 quad_perm:[0,0,0,0] row_mask:0xf bank_mask:0xf// 00000000A7DC: 06C0C0FA FF0000B1
	v_subrev_f32_dpp v97, v177, v97 quad_perm:[1,1,1,1] row_mask:0xf bank_mask:0xf// 00000000A7E4: 06C2C2FA FF0055B1
	v_subrev_f32_dpp v98, v177, v98 quad_perm:[2,2,2,2] row_mask:0xf bank_mask:0xf// 00000000A7EC: 06C4C4FA FF00AAB1
	v_subrev_f32_dpp v99, v177, v99 quad_perm:[3,3,3,3] row_mask:0xf bank_mask:0xf// 00000000A7F4: 06C6C6FA FF00FFB1
	v_mfma_f32_16x16x16_bf16 v[180:183], v[132:133], v[170:171], v[180:183]// 00000000A7FC: D3E100B4 06D35584
	v_mul_f32_e32 v88, v64, v88                                // 00000000A804: 0AB0B140
	v_mul_f32_e32 v89, v65, v89                                // 00000000A808: 0AB2B341
	v_mul_f32_e32 v90, v66, v90                                // 00000000A80C: 0AB4B542
	v_mul_f32_e32 v91, v67, v91                                // 00000000A810: 0AB6B743
	v_mul_f32_e32 v92, v68, v92                                // 00000000A814: 0AB8B944
	v_mul_f32_e32 v93, v69, v93                                // 00000000A818: 0ABABB45
	v_mfma_f32_16x16x16_bf16 v[184:187], v[134:135], v[170:171], v[184:187]// 00000000A81C: D3E100B8 06E35586
	v_mul_f32_e32 v94, v70, v94                                // 00000000A824: 0ABCBD46
	v_mul_f32_e32 v95, v71, v95                                // 00000000A828: 0ABEBF47
	v_mul_f32_e32 v96, v72, v96                                // 00000000A82C: 0AC0C148
	v_mul_f32_e32 v97, v73, v97                                // 00000000A830: 0AC2C349
	v_mul_f32_e32 v98, v74, v98                                // 00000000A834: 0AC4C54A
	v_mul_f32_e32 v99, v75, v99                                // 00000000A838: 0AC6C74B
	v_mfma_f32_16x16x16_bf16 v[188:191], v[136:137], v[170:171], v[188:191]// 00000000A83C: D3E100BC 06F35588
	v_cmp_u_f32_e64 s[78:79], v88, v88                         // 00000000A844: D048004E 0002B158
	v_add3_u32 v228, v88, v231, 1                              // 00000000A84C: D1FF00E4 0207CF58
	v_cndmask_b32_e64 v32, v228, v230, s[78:79]                // 00000000A854: D1000020 013BCDE4
	v_cmp_u_f32_e64 s[78:79], v89, v89                         // 00000000A85C: D048004E 0002B359
	v_add3_u32 v228, v89, v231, 1                              // 00000000A864: D1FF00E4 0207CF59
	v_cndmask_b32_e64 v33, v228, v230, s[78:79]                // 00000000A86C: D1000021 013BCDE4
	v_perm_b32 v82, v33, v32, s64                              // 00000000A874: D1ED0052 01024121
	v_cmp_u_f32_e64 s[78:79], v90, v90                         // 00000000A87C: D048004E 0002B55A
	v_add3_u32 v228, v90, v231, 1                              // 00000000A884: D1FF00E4 0207CF5A
	v_cndmask_b32_e64 v32, v228, v230, s[78:79]                // 00000000A88C: D1000020 013BCDE4
	v_cmp_u_f32_e64 s[78:79], v91, v91                         // 00000000A894: D048004E 0002B75B
	v_add3_u32 v228, v91, v231, 1                              // 00000000A89C: D1FF00E4 0207CF5B
	v_cndmask_b32_e64 v33, v228, v230, s[78:79]                // 00000000A8A4: D1000021 013BCDE4
	v_perm_b32 v83, v33, v32, s64                              // 00000000A8AC: D1ED0053 01024121
	v_cmp_u_f32_e64 s[78:79], v92, v92                         // 00000000A8B4: D048004E 0002B95C
	v_add3_u32 v228, v92, v231, 1                              // 00000000A8BC: D1FF00E4 0207CF5C
	v_cndmask_b32_e64 v32, v228, v230, s[78:79]                // 00000000A8C4: D1000020 013BCDE4
	v_cmp_u_f32_e64 s[78:79], v93, v93                         // 00000000A8CC: D048004E 0002BB5D
	v_add3_u32 v228, v93, v231, 1                              // 00000000A8D4: D1FF00E4 0207CF5D
	v_cndmask_b32_e64 v33, v228, v230, s[78:79]                // 00000000A8DC: D1000021 013BCDE4
	v_perm_b32 v84, v33, v32, s64                              // 00000000A8E4: D1ED0054 01024121
	v_cmp_u_f32_e64 s[78:79], v94, v94                         // 00000000A8EC: D048004E 0002BD5E
	v_add3_u32 v228, v94, v231, 1                              // 00000000A8F4: D1FF00E4 0207CF5E
	v_cndmask_b32_e64 v32, v228, v230, s[78:79]                // 00000000A8FC: D1000020 013BCDE4
	v_cmp_u_f32_e64 s[78:79], v95, v95                         // 00000000A904: D048004E 0002BF5F
	v_add3_u32 v228, v95, v231, 1                              // 00000000A90C: D1FF00E4 0207CF5F
	v_cndmask_b32_e64 v33, v228, v230, s[78:79]                // 00000000A914: D1000021 013BCDE4
	v_perm_b32 v85, v33, v32, s64                              // 00000000A91C: D1ED0055 01024121
	v_cmp_u_f32_e64 s[78:79], v96, v96                         // 00000000A924: D048004E 0002C160
	v_add3_u32 v228, v96, v231, 1                              // 00000000A92C: D1FF00E4 0207CF60
	v_cndmask_b32_e64 v32, v228, v230, s[78:79]                // 00000000A934: D1000020 013BCDE4
	v_cmp_u_f32_e64 s[78:79], v97, v97                         // 00000000A93C: D048004E 0002C361
	v_add3_u32 v228, v97, v231, 1                              // 00000000A944: D1FF00E4 0207CF61
	v_cndmask_b32_e64 v33, v228, v230, s[78:79]                // 00000000A94C: D1000021 013BCDE4
	v_perm_b32 v86, v33, v32, s64                              // 00000000A954: D1ED0056 01024121
	v_cmp_u_f32_e64 s[78:79], v98, v98                         // 00000000A95C: D048004E 0002C562
	v_add3_u32 v228, v98, v231, 1                              // 00000000A964: D1FF00E4 0207CF62
	v_cndmask_b32_e64 v32, v228, v230, s[78:79]                // 00000000A96C: D1000020 013BCDE4
	v_cmp_u_f32_e64 s[78:79], v99, v99                         // 00000000A974: D048004E 0002C763
	v_add3_u32 v228, v99, v231, 1                              // 00000000A97C: D1FF00E4 0207CF63
	v_cndmask_b32_e64 v33, v228, v230, s[78:79]                // 00000000A984: D1000021 013BCDE4
	v_perm_b32 v87, v33, v32, s64                              // 00000000A98C: D1ED0057 01024121
	v_mfma_f32_16x16x16_bf16 v[192:195], v[138:139], v[170:171], v[192:195]// 00000000A994: D3E100C0 0703558A
	v_mov_b32_dpp v18, v82 quad_perm:[1,0,3,2] row_mask:0xf bank_mask:0xf// 00000000A99C: 7E2402FA FF00B152
	v_perm_b32 v58, v18, v82, v17                              // 00000000A9A4: D1ED003A 0446A512
	v_mov_b32_dpp v18, v83 quad_perm:[1,0,3,2] row_mask:0xf bank_mask:0xf// 00000000A9AC: 7E2402FA FF00B153
	v_perm_b32 v59, v18, v83, v17                              // 00000000A9B4: D1ED003B 0446A712
	v_mov_b32_dpp v18, v84 quad_perm:[1,0,3,2] row_mask:0xf bank_mask:0xf// 00000000A9BC: 7E2402FA FF00B154
	v_perm_b32 v60, v18, v84, v17                              // 00000000A9C4: D1ED003C 0446A912
	v_mfma_f32_16x16x16_bf16 v[196:199], v[132:133], v[172:173], v[196:199]// 00000000A9CC: D3E100C4 07135984
	ds_write_b32 v20, v58 offset:24320                         // 00000000A9D4: D81A5F00 00003A14
	ds_write_b32 v20, v59 offset:24864                         // 00000000A9DC: D81A6120 00003B14
	v_mfma_f32_16x16x16_bf16 v[200:203], v[134:135], v[172:173], v[200:203]// 00000000A9E4: D3E100C8 07235986
	v_mov_b32_dpp v18, v85 quad_perm:[1,0,3,2] row_mask:0xf bank_mask:0xf// 00000000A9EC: 7E2402FA FF00B155
	v_perm_b32 v61, v18, v85, v17                              // 00000000A9F4: D1ED003D 0446AB12
	v_mov_b32_dpp v18, v86 quad_perm:[1,0,3,2] row_mask:0xf bank_mask:0xf// 00000000A9FC: 7E2402FA FF00B156
	v_perm_b32 v62, v18, v86, v17                              // 00000000AA04: D1ED003E 0446AD12
	v_mov_b32_dpp v18, v87 quad_perm:[1,0,3,2] row_mask:0xf bank_mask:0xf// 00000000AA0C: 7E2402FA FF00B157
	v_perm_b32 v63, v18, v87, v17                              // 00000000AA14: D1ED003F 0446AF12
	v_mfma_f32_16x16x16_bf16 v[204:207], v[136:137], v[172:173], v[204:207]// 00000000AA1C: D3E100CC 07335988
	ds_write_b32 v20, v60 offset:26624                         // 00000000AA24: D81A6800 00003C14
	ds_write_b32 v20, v61 offset:27168                         // 00000000AA2C: D81A6A20 00003D14
	ds_write_b32 v20, v62 offset:28928                         // 00000000AA34: D81A7100 00003E14
	ds_write_b32 v20, v63 offset:29472                         // 00000000AA3C: D81A7320 00003F14
	v_mfma_f32_16x16x16_bf16 v[208:211], v[138:139], v[172:173], v[208:211]// 00000000AA44: D3E100D0 0743598A
	v_mfma_f32_16x16x16_bf16 v[212:215], v[132:133], v[174:175], v[212:215]// 00000000AA4C: D3E100D4 07535D84
	ds_write_b32 v15, v100 offset:4352                         // 00000000AA54: D81A1100 0000640F
	ds_write_b32 v15, v101 offset:5408                         // 00000000AA5C: D81A1520 0000650F
	v_mfma_f32_16x16x16_bf16 v[216:219], v[134:135], v[174:175], v[216:219]// 00000000AA64: D3E100D8 07635D86
	v_mfma_f32_16x16x16_bf16 v[220:223], v[136:137], v[174:175], v[220:223]// 00000000AA6C: D3E100DC 07735D88
	ds_write_b32 v15, v102 offset:6528                         // 00000000AA74: D81A1980 0000660F
	ds_write_b32 v15, v103 offset:7584                         // 00000000AA7C: D81A1DA0 0000670F
	v_mfma_f32_16x16x16_bf16 v[224:227], v[138:139], v[174:175], v[224:227]// 00000000AA84: D3E100E0 07835D8A
	s_nop 0                                                    // 00000000AA8C: BF800000
	s_nop 0                                                    // 00000000AA90: BF800000
	s_nop 0                                                    // 00000000AA94: BF800000
	s_barrier                                                  // 00000000AA98: BF8A0000
	v_mfma_f32_16x16x16_bf16 a[112:115], a[96:97], v[76:77], a[112:115]// 00000000AA9C: D3E18070 0DC29960
	ds_read_b32 v140, v23 offset:39424                         // 00000000AAA4: D86C9A00 8C000017
	ds_read_b32 v144, v23 offset:39488                         // 00000000AAAC: D86C9A40 90000017
	ds_read_b32 v176, v23 offset:39680                         // 00000000AAB4: D86C9B00 B0000017
	ds_read_b32 v177, v23 offset:39744                         // 00000000AABC: D86C9B40 B1000017
	v_mfma_f32_16x16x16_bf16 a[116:119], a[98:99], v[76:77], a[116:119]// 00000000AAC4: D3E18074 0DD29962
	buffer_atomic_add_f32 v156, v6, s[32:35], 0 idxen          // 00000000AACC: E1342000 80089C06
	v_mfma_f32_16x16x16_bf16 a[120:123], a[100:101], v[76:77], a[120:123]// 00000000AAD4: D3E18078 0DE29964
	s_waitcnt lgkmcnt(8)                                       // 00000000AADC: BF8CC87F
	s_barrier                                                  // 00000000AAE0: BF8A0000
	v_mfma_f32_16x16x16_bf16 a[124:127], a[102:103], v[76:77], a[124:127]// 00000000AAE4: D3E1807C 0DF29966
	v_mfma_f32_16x16x16_bf16 a[128:131], a[96:97], v[78:79], a[128:131]// 00000000AAEC: D3E18080 0E029D60
	ds_read_b128 v[52:55], v19 offset:17408                    // 00000000AAF4: D9FE4400 34000013
	v_mfma_f32_16x16x16_bf16 a[132:135], a[98:99], v[78:79], a[132:135]// 00000000AAFC: D3E18084 0E129D62
	v_mfma_f32_16x16x16_bf16 a[136:139], a[100:101], v[78:79], a[136:139]// 00000000AB04: D3E18088 0E229D64
	ds_read_b128 v[56:59], v19 offset:18560                    // 00000000AB0C: D9FE4880 38000013
	v_mfma_f32_16x16x16_bf16 a[140:143], a[102:103], v[78:79], a[140:143]// 00000000AB14: D3E1808C 0E329D66
	buffer_atomic_add_f32 v157, v7, s[32:35], 0 idxen          // 00000000AB1C: E1342000 80089D07
	v_mfma_f32_16x16x16_bf16 a[144:147], a[96:97], v[80:81], a[144:147]// 00000000AB24: D3E18090 0E42A160
	ds_read_b128 v[60:63], v19 offset:19712                    // 00000000AB2C: D9FE4D00 3C000013
	v_mfma_f32_16x16x16_bf16 a[148:151], a[98:99], v[80:81], a[148:151]// 00000000AB34: D3E18094 0E52A162
	v_mfma_f32_16x16x16_bf16 a[152:155], a[100:101], v[80:81], a[152:155]// 00000000AB3C: D3E18098 0E62A164
	ds_read_b128 v[64:67], v19 offset:20864                    // 00000000AB44: D9FE5180 40000013
	v_mfma_f32_16x16x16_bf16 a[156:159], a[102:103], v[80:81], a[156:159]// 00000000AB4C: D3E1809C 0E72A166
	v_mfma_f32_16x16x16_bf16 a[112:115], a[104:105], v[82:83], a[112:115]// 00000000AB54: D3E18070 0DC2A568
	ds_read_b128 v[68:71], v19 offset:22016                    // 00000000AB5C: D9FE5600 44000013
	v_mfma_f32_16x16x16_bf16 a[116:119], a[106:107], v[82:83], a[116:119]// 00000000AB64: D3E18074 0DD2A56A
	buffer_atomic_add_f32 v158, v6, s[32:35], 0 idxen offset:128// 00000000AB6C: E1342080 80089E06
	v_mfma_f32_16x16x16_bf16 a[120:123], a[108:109], v[82:83], a[120:123]// 00000000AB74: D3E18078 0DE2A56C
	ds_read_b128 v[72:75], v19 offset:23168                    // 00000000AB7C: D9FE5A80 48000013
	v_mfma_f32_16x16x16_bf16 a[124:127], a[110:111], v[82:83], a[124:127]// 00000000AB84: D3E1807C 0DF2A56E
	v_mfma_f32_16x16x16_bf16 a[128:131], a[104:105], v[84:85], a[128:131]// 00000000AB8C: D3E18080 0E02A968
	ds_write_b32 v15, v104 offset:13056                        // 00000000AB94: D81A3300 0000680F
	v_mfma_f32_16x16x16_bf16 a[132:135], a[106:107], v[84:85], a[132:135]// 00000000AB9C: D3E18084 0E12A96A
	v_mfma_f32_16x16x16_bf16 a[136:139], a[108:109], v[84:85], a[136:139]// 00000000ABA4: D3E18088 0E22A96C
	ds_write_b32 v15, v105 offset:14112                        // 00000000ABAC: D81A3720 0000690F
	v_mfma_f32_16x16x16_bf16 a[140:143], a[110:111], v[84:85], a[140:143]// 00000000ABB4: D3E1808C 0E32A96E
	buffer_atomic_add_f32 v159, v7, s[32:35], 0 idxen offset:128// 00000000ABBC: E1342080 80089F07
	v_mfma_f32_16x16x16_bf16 a[144:147], a[104:105], v[86:87], a[144:147]// 00000000ABC4: D3E18090 0E42AD68
	ds_write_b32 v15, v106 offset:15232                        // 00000000ABCC: D81A3B80 00006A0F
	v_mfma_f32_16x16x16_bf16 a[148:151], a[106:107], v[86:87], a[148:151]// 00000000ABD4: D3E18094 0E52AD6A
	v_mfma_f32_16x16x16_bf16 a[152:155], a[108:109], v[86:87], a[152:155]// 00000000ABDC: D3E18098 0E62AD6C
	ds_write_b32 v15, v107 offset:16288                        // 00000000ABE4: D81A3FA0 00006B0F
	v_mfma_f32_16x16x16_bf16 a[156:159], a[110:111], v[86:87], a[156:159]// 00000000ABEC: D3E1809C 0E72AD6E
	s_waitcnt vmcnt(8) lgkmcnt(4)                              // 00000000ABF4: BF8C0478
	s_barrier                                                  // 00000000ABF8: BF8A0000
	v_mfma_f32_16x16x16_bf16 v[148:151], v[52:53], a[24:25], 0 // 00000000ABFC: D3E10094 12023134
	ds_read_b128 a[96:99], v12                                 // 00000000AC04: DBFE0000 6000000C
	buffer_load_dword v36, v1, s[8:11], 0 idxen                // 00000000AC0C: E0502000 80022401
	v_mfma_f32_16x16x16_bf16 v[148:151], v[54:55], a[28:29], v[148:151]// 00000000AC14: D3E10094 16523936
	v_mul_f32_e32 v140, s48, v140                              // 00000000AC1C: 0B191830
	v_mul_f32_e32 v144, s48, v144                              // 00000000AC20: 0B212030
	s_nop 0                                                    // 00000000AC24: BF800000
	v_mfma_f32_16x16x16_bf16 v[148:151], v[56:57], a[32:33], v[148:151]// 00000000AC28: D3E10094 16524138
	ds_read_b128 a[100:103], v12 offset:512                    // 00000000AC30: DBFE0200 6400000C
	buffer_load_dword v37, v2, s[8:11], 0 idxen                // 00000000AC38: E0502000 80022502
	v_mfma_f32_16x16x16_bf16 v[148:151], v[58:59], a[36:37], v[148:151]// 00000000AC40: D3E10094 1652493A
	v_mfma_f32_16x16x16_bf16 v[148:151], v[60:61], a[40:41], v[148:151]// 00000000AC48: D3E10094 1652513C
	ds_read_b128 a[104:107], v12 offset:2176                   // 00000000AC50: DBFE0880 6800000C
	buffer_load_dword v38, v3, s[8:11], 0 idxen                // 00000000AC58: E0502000 80022603
	v_mfma_f32_16x16x16_bf16 v[148:151], v[62:63], a[44:45], v[148:151]// 00000000AC60: D3E10094 1652593E
	v_perm_b32 v100, v41, v40, s63                             // 00000000AC68: D1ED0064 00FE5129
	v_perm_b32 v101, v41, v40, s64                             // 00000000AC70: D1ED0065 01025129
	v_mfma_f32_16x16x16_bf16 v[148:151], v[64:65], a[48:49], v[148:151]// 00000000AC78: D3E10094 16526140
	ds_read_b128 a[108:111], v12 offset:2688                   // 00000000AC80: DBFE0A80 6C00000C
	buffer_load_dword v39, v4, s[8:11], 0 idxen                // 00000000AC88: E0502000 80022704
	v_mfma_f32_16x16x16_bf16 v[148:151], v[66:67], a[52:53], v[148:151]// 00000000AC90: D3E10094 16526942
	v_perm_b32 v102, v43, v42, s63                             // 00000000AC98: D1ED0066 00FE552B
	v_perm_b32 v103, v43, v42, s64                             // 00000000ACA0: D1ED0067 0102552B
	v_mfma_f32_16x16x16_bf16 v[148:151], v[68:69], a[56:57], v[148:151]// 00000000ACA8: D3E10094 16527144
	ds_read_b128 v[108:111], v12 offset:8704                   // 00000000ACB0: D9FE2200 6C00000C
	buffer_load_dword v44, v232, s[20:23], 0 idxen             // 00000000ACB8: E0502000 80052CE8
	v_mfma_f32_16x16x16_bf16 v[148:151], v[70:71], a[60:61], v[148:151]// 00000000ACC0: D3E10094 16527946
	v_perm_b32 v104, v49, v48, s63                             // 00000000ACC8: D1ED0068 00FE6131
	v_perm_b32 v105, v49, v48, s64                             // 00000000ACD0: D1ED0069 01026131
	v_mfma_f32_16x16x16_bf16 v[148:151], v[72:73], a[64:65], v[148:151]// 00000000ACD8: D3E10094 16528148
	ds_read_b128 v[112:115], v12 offset:9216                   // 00000000ACE0: D9FE2400 7000000C
	buffer_load_dword v45, v233, s[20:23], 0 idxen             // 00000000ACE8: E0502000 80052DE9
	v_mfma_f32_16x16x16_bf16 v[148:151], v[74:75], a[68:69], v[148:151]// 00000000ACF0: D3E10094 1652894A
	v_perm_b32 v106, v51, v50, s63                             // 00000000ACF8: D1ED006A 00FE6533
	v_perm_b32 v107, v51, v50, s64                             // 00000000AD00: D1ED006B 01026533
	v_mfma_f32_16x16x16_bf16 v[152:155], v[52:53], a[26:27], 0 // 00000000AD08: D3E10098 12023534
	ds_read_b128 v[116:119], v12 offset:10880                  // 00000000AD10: D9FE2A80 7400000C
	buffer_load_dword v46, v234, s[20:23], 0 idxen             // 00000000AD18: E0502000 80052EEA
	v_mfma_f32_16x16x16_bf16 v[152:155], v[54:55], a[30:31], v[152:155]// 00000000AD20: D3E10098 16623D36
	v_mov_b32_dpp v143, v140 quad_perm:[3,3,3,3] row_mask:0xf bank_mask:0xf// 00000000AD28: 7F1E02FA FF00FF8C
	v_mov_b32_dpp v142, v140 quad_perm:[2,2,2,2] row_mask:0xf bank_mask:0xf// 00000000AD30: 7F1C02FA FF00AA8C
	v_mov_b32_dpp v141, v140 quad_perm:[1,1,1,1] row_mask:0xf bank_mask:0xf// 00000000AD38: 7F1A02FA FF00558C
	v_mov_b32_dpp v140, v140 quad_perm:[0,0,0,0] row_mask:0xf bank_mask:0xf// 00000000AD40: 7F1802FA FF00008C
	v_mfma_f32_16x16x16_bf16 v[152:155], v[56:57], a[34:35], v[152:155]// 00000000AD48: D3E10098 16624538
	ds_read_b128 v[120:123], v12 offset:11392                  // 00000000AD50: D9FE2C80 7800000C
	buffer_load_dword v47, v235, s[20:23], 0 idxen             // 00000000AD58: E0502000 80052FEB
	v_mfma_f32_16x16x16_bf16 v[152:155], v[58:59], a[38:39], v[152:155]// 00000000AD60: D3E10098 16624D3A
	v_mov_b32_dpp v147, v144 quad_perm:[3,3,3,3] row_mask:0xf bank_mask:0xf// 00000000AD68: 7F2602FA FF00FF90
	v_mov_b32_dpp v146, v144 quad_perm:[2,2,2,2] row_mask:0xf bank_mask:0xf// 00000000AD70: 7F2402FA FF00AA90
	v_mov_b32_dpp v145, v144 quad_perm:[1,1,1,1] row_mask:0xf bank_mask:0xf// 00000000AD78: 7F2202FA FF005590
	v_mov_b32_dpp v144, v144 quad_perm:[0,0,0,0] row_mask:0xf bank_mask:0xf// 00000000AD80: 7F2002FA FF000090
	s_add_u32 s60, 0x80, s59                                   // 00000000AD88: 803C3BFF 00000080
	v_mfma_f32_16x16x16_bf16 v[152:155], v[60:61], a[42:43], v[152:155]// 00000000AD90: D3E10098 1662553C
	buffer_load_dword v11, s[24:27], 0 idxen lds               // 00000000AD98: E0512000 8006000B
	v_mfma_f32_16x16x16_bf16 v[152:155], v[62:63], a[46:47], v[152:155]// 00000000ADA0: D3E10098 16625D3E
	s_cmp_lt_u32 s60, s58                                      // 00000000ADA8: BF0A3A3C
	s_cselect_b32 s68, s68, 0                                  // 00000000ADAC: 85448044
	s_cselect_b32 s100, s100, 0                                // 00000000ADB0: 85648064
	s_cselect_b32 s69, s69, 0                                  // 00000000ADB4: 85458045
	v_mfma_f32_16x16x16_bf16 v[152:155], v[64:65], a[50:51], v[152:155]// 00000000ADB8: D3E10098 16626540
	v_add_u32_e32 v1, s68, v1                                  // 00000000ADC0: 68020244
	v_add_u32_e32 v2, s68, v2                                  // 00000000ADC4: 68040444
	v_add_u32_e32 v3, s68, v3                                  // 00000000ADC8: 68060644
	v_add_u32_e32 v4, s68, v4                                  // 00000000ADCC: 68080844
	v_mfma_f32_16x16x16_bf16 v[152:155], v[66:67], a[54:55], v[152:155]// 00000000ADD0: D3E10098 16626D42
	v_add_u32_e32 v232, s100, v232                             // 00000000ADD8: 69D1D064
	v_add_u32_e32 v233, s100, v233                             // 00000000ADDC: 69D3D264
	v_add_u32_e32 v234, s100, v234                             // 00000000ADE0: 69D5D464
	v_add_u32_e32 v235, s100, v235                             // 00000000ADE4: 69D7D664
	v_mfma_f32_16x16x16_bf16 v[152:155], v[68:69], a[58:59], v[152:155]// 00000000ADE8: D3E10098 16627544
	s_mov_b32 m0, s81                                          // 00000000ADF0: BEFC0051
	v_add_u32_e32 v11, s69, v11                                // 00000000ADF4: 68161645
	v_mfma_f32_16x16x16_bf16 v[152:155], v[70:71], a[62:63], v[152:155]// 00000000ADF8: D3E10098 16627D46
	s_cmp_ge_u32 s59, s73                                      // 00000000AE00: BF09493B
	s_cselect_b32 s66, s67, s66                                // 00000000AE04: 85424243
	v_mfma_f32_16x16x16_bf16 v[152:155], v[72:73], a[66:67], v[152:155]// 00000000AE08: D3E10098 16628548
	s_addk_i32 s59, 0x20                                       // 00000000AE10: B73B0020
	s_nop 0                                                    // 00000000AE14: BF800000
	s_cmp_lt_i32 s59, s58                                      // 00000000AE18: BF043A3B
	v_mfma_f32_16x16x16_bf16 v[152:155], v[74:75], a[70:71], v[152:155]// 00000000AE1C: D3E10098 16628D4A
	s_cbranch_scc0 label_1105                                  // 00000000AE24: BF84F569
	s_branch label_1108                                        // 00000000AE28: BF82F56B

000000000000ae2c <label_1BAF>:
	buffer_atomic_add_f32 v160, v8, s[32:35], 0 idxen          // 00000000AE2C: E1342000 8008A008
	buffer_atomic_add_f32 v161, v9, s[32:35], 0 idxen          // 00000000AE34: E1342000 8008A109
	buffer_atomic_add_f32 v162, v8, s[32:35], 0 idxen offset:128// 00000000AE3C: E1342080 8008A208
	buffer_atomic_add_f32 v163, v9, s[32:35], 0 idxen offset:128// 00000000AE44: E1342080 8008A309
	v_add_u32_e32 v6, s66, v6                                  // 00000000AE4C: 680C0C42
	v_add_u32_e32 v7, s66, v7                                  // 00000000AE50: 680E0E42
	v_add_u32_e32 v8, s66, v8                                  // 00000000AE54: 68101042
	v_add_u32_e32 v9, s66, v9                                  // 00000000AE58: 68121242
	v_lshrrev_b32_e32 v32, 5, v0                               // 00000000AE5C: 20400085
	v_mul_i32_i24_e32 v27, 0x44, v32                           // 00000000AE60: 0C3640FF 00000044
	v_and_b32_e32 v32, 31, v0                                  // 00000000AE68: 2640009F
	v_mul_i32_i24_e32 v33, 2, v32                              // 00000000AE6C: 0C424082
	v_add_u32_e32 v27, v33, v27                                // 00000000AE70: 68363721
	s_mul_i32 s60, s46, 0x220                                  // 00000000AE74: 923CFF2E 00000220
	v_add_u32_e32 v27, s60, v27                                // 00000000AE7C: 6836363C
	v_lshlrev_b32_e32 v27, 2, v27                              // 00000000AE80: 24363682
	v_mul_f32_e32 v148, s47, v148                              // 00000000AE84: 0B29282F
	v_mul_f32_e32 v149, s47, v149                              // 00000000AE88: 0B2B2A2F
	v_mul_f32_e32 v150, s47, v150                              // 00000000AE8C: 0B2D2C2F
	v_mul_f32_e32 v151, s47, v151                              // 00000000AE90: 0B2F2E2F
	v_mul_f32_e32 v152, s47, v152                              // 00000000AE94: 0B31302F
	v_mul_f32_e32 v153, s47, v153                              // 00000000AE98: 0B33322F
	v_mul_f32_e32 v154, s47, v154                              // 00000000AE9C: 0B35342F
	v_mul_f32_e32 v155, s47, v155                              // 00000000AEA0: 0B37362F
	ds_write_b64 v22, v[148:149] offset:31232                  // 00000000AEA4: D89A7A00 00009416
	ds_write_b64 v22, v[150:151] offset:31744                  // 00000000AEAC: D89A7C00 00009616
	ds_write_b64 v22, v[152:153] offset:32256                  // 00000000AEB4: D89A7E00 00009816
	ds_write_b64 v22, v[154:155] offset:32768                  // 00000000AEBC: D89A8000 00009A16
	s_waitcnt lgkmcnt(0)                                       // 00000000AEC4: BF8CC07F
	s_barrier                                                  // 00000000AEC8: BF8A0000
	ds_read_b64 v[156:157], v21 offset:31232                   // 00000000AECC: D8EC7A00 9C000015
	ds_read_b64 v[158:159], v21 offset:33280                   // 00000000AED4: D8EC8200 9E000015
	ds_read_b64 v[160:161], v21 offset:35328                   // 00000000AEDC: D8EC8A00 A0000015
	ds_read_b64 v[162:163], v21 offset:37376                   // 00000000AEE4: D8EC9200 A2000015
	s_waitcnt lgkmcnt(0)                                       // 00000000AEEC: BF8CC07F
	s_barrier                                                  // 00000000AEF0: BF8A0000
	buffer_atomic_add_f32 v156, v6, s[32:35], 0 idxen          // 00000000AEF4: E1342000 80089C06
	buffer_atomic_add_f32 v157, v7, s[32:35], 0 idxen          // 00000000AEFC: E1342000 80089D07
	buffer_atomic_add_f32 v158, v6, s[32:35], 0 idxen offset:128// 00000000AF04: E1342080 80089E06
	buffer_atomic_add_f32 v159, v7, s[32:35], 0 idxen offset:128// 00000000AF0C: E1342080 80089F07
	buffer_atomic_add_f32 v160, v8, s[32:35], 0 idxen          // 00000000AF14: E1342000 8008A008
	buffer_atomic_add_f32 v161, v9, s[32:35], 0 idxen          // 00000000AF1C: E1342000 8008A109
	buffer_atomic_add_f32 v162, v8, s[32:35], 0 idxen offset:128// 00000000AF24: E1342080 8008A208
	buffer_atomic_add_f32 v163, v9, s[32:35], 0 idxen offset:128// 00000000AF2C: E1342080 8008A309
	v_lshrrev_b32_e32 v32, 3, v0                               // 00000000AF34: 20400083
	v_mul_i32_i24_e32 v26, 2, v32                              // 00000000AF38: 0C344082
	v_and_b32_e32 v32, 7, v0                                   // 00000000AF3C: 26400087
	v_mul_i32_i24_e32 v33, 0x44, v32                           // 00000000AF40: 0C4240FF 00000044
	v_add_u32_e32 v26, v33, v26                                // 00000000AF48: 68343521
	s_mul_i32 s60, s46, 0x220                                  // 00000000AF4C: 923CFF2E 00000220
	v_add_u32_e32 v26, s60, v26                                // 00000000AF54: 6834343C
	v_lshlrev_b32_e32 v26, 2, v26                              // 00000000AF58: 24343482
	v_accvgpr_read_b32 v34, a112                               // 00000000AF5C: D3D84022 18000170
	v_accvgpr_read_b32 v35, a113                               // 00000000AF64: D3D84023 18000171
	v_mul_f32_e32 v34, s47, v34                                // 00000000AF6C: 0A44442F
	v_mul_f32_e32 v35, s47, v35                                // 00000000AF70: 0A46462F
	v_cmp_u_f32_e64 s[78:79], v34, v34                         // 00000000AF74: D048004E 00024522
	v_bfe_u32 v228, v34, 16, 1                                 // 00000000AF7C: D1C800E4 02052122
	v_add3_u32 v228, v34, v228, v231                           // 00000000AF84: D1FF00E4 079FC922
	v_cndmask_b32_e64 v32, v228, v230, s[78:79]                // 00000000AF8C: D1000020 013BCDE4
	v_lshrrev_b32_e32 v32, 16, v32                             // 00000000AF94: 20404090
	v_cmp_u_f32_e64 s[78:79], v35, v35                         // 00000000AF98: D048004E 00024723
	v_bfe_u32 v228, v35, 16, 1                                 // 00000000AFA0: D1C800E4 02052123
	v_add3_u32 v228, v35, v228, v231                           // 00000000AFA8: D1FF00E4 079FC923
	v_cndmask_b32_e64 v33, v228, v230, s[78:79]                // 00000000AFB0: D1000021 013BCDE4
	v_and_or_b32 v52, v33, v229, v32                           // 00000000AFB8: D2010034 0483CB21
	v_accvgpr_read_b32 v34, a114                               // 00000000AFC0: D3D84022 18000172
	v_accvgpr_read_b32 v35, a115                               // 00000000AFC8: D3D84023 18000173
	v_mul_f32_e32 v34, s47, v34                                // 00000000AFD0: 0A44442F
	v_mul_f32_e32 v35, s47, v35                                // 00000000AFD4: 0A46462F
	v_cmp_u_f32_e64 s[78:79], v34, v34                         // 00000000AFD8: D048004E 00024522
	v_bfe_u32 v228, v34, 16, 1                                 // 00000000AFE0: D1C800E4 02052122
	v_add3_u32 v228, v34, v228, v231                           // 00000000AFE8: D1FF00E4 079FC922
	v_cndmask_b32_e64 v32, v228, v230, s[78:79]                // 00000000AFF0: D1000020 013BCDE4
	v_lshrrev_b32_e32 v32, 16, v32                             // 00000000AFF8: 20404090
	v_cmp_u_f32_e64 s[78:79], v35, v35                         // 00000000AFFC: D048004E 00024723
	v_bfe_u32 v228, v35, 16, 1                                 // 00000000B004: D1C800E4 02052123
	v_add3_u32 v228, v35, v228, v231                           // 00000000B00C: D1FF00E4 079FC923
	v_cndmask_b32_e64 v33, v228, v230, s[78:79]                // 00000000B014: D1000021 013BCDE4
	v_and_or_b32 v53, v33, v229, v32                           // 00000000B01C: D2010035 0483CB21
	v_accvgpr_read_b32 v34, a116                               // 00000000B024: D3D84022 18000174
	v_accvgpr_read_b32 v35, a117                               // 00000000B02C: D3D84023 18000175
	v_mul_f32_e32 v34, s47, v34                                // 00000000B034: 0A44442F
	v_mul_f32_e32 v35, s47, v35                                // 00000000B038: 0A46462F
	v_cmp_u_f32_e64 s[78:79], v34, v34                         // 00000000B03C: D048004E 00024522
	v_bfe_u32 v228, v34, 16, 1                                 // 00000000B044: D1C800E4 02052122
	v_add3_u32 v228, v34, v228, v231                           // 00000000B04C: D1FF00E4 079FC922
	v_cndmask_b32_e64 v32, v228, v230, s[78:79]                // 00000000B054: D1000020 013BCDE4
	v_lshrrev_b32_e32 v32, 16, v32                             // 00000000B05C: 20404090
	v_cmp_u_f32_e64 s[78:79], v35, v35                         // 00000000B060: D048004E 00024723
	v_bfe_u32 v228, v35, 16, 1                                 // 00000000B068: D1C800E4 02052123
	v_add3_u32 v228, v35, v228, v231                           // 00000000B070: D1FF00E4 079FC923
	v_cndmask_b32_e64 v33, v228, v230, s[78:79]                // 00000000B078: D1000021 013BCDE4
	v_and_or_b32 v54, v33, v229, v32                           // 00000000B080: D2010036 0483CB21
	v_accvgpr_read_b32 v34, a118                               // 00000000B088: D3D84022 18000176
	v_accvgpr_read_b32 v35, a119                               // 00000000B090: D3D84023 18000177
	v_mul_f32_e32 v34, s47, v34                                // 00000000B098: 0A44442F
	v_mul_f32_e32 v35, s47, v35                                // 00000000B09C: 0A46462F
	v_cmp_u_f32_e64 s[78:79], v34, v34                         // 00000000B0A0: D048004E 00024522
	v_bfe_u32 v228, v34, 16, 1                                 // 00000000B0A8: D1C800E4 02052122
	v_add3_u32 v228, v34, v228, v231                           // 00000000B0B0: D1FF00E4 079FC922
	v_cndmask_b32_e64 v32, v228, v230, s[78:79]                // 00000000B0B8: D1000020 013BCDE4
	v_lshrrev_b32_e32 v32, 16, v32                             // 00000000B0C0: 20404090
	v_cmp_u_f32_e64 s[78:79], v35, v35                         // 00000000B0C4: D048004E 00024723
	v_bfe_u32 v228, v35, 16, 1                                 // 00000000B0CC: D1C800E4 02052123
	v_add3_u32 v228, v35, v228, v231                           // 00000000B0D4: D1FF00E4 079FC923
	v_cndmask_b32_e64 v33, v228, v230, s[78:79]                // 00000000B0DC: D1000021 013BCDE4
	v_and_or_b32 v55, v33, v229, v32                           // 00000000B0E4: D2010037 0483CB21
	v_accvgpr_read_b32 v34, a120                               // 00000000B0EC: D3D84022 18000178
	v_accvgpr_read_b32 v35, a121                               // 00000000B0F4: D3D84023 18000179
	v_mul_f32_e32 v34, s47, v34                                // 00000000B0FC: 0A44442F
	v_mul_f32_e32 v35, s47, v35                                // 00000000B100: 0A46462F
	v_cmp_u_f32_e64 s[78:79], v34, v34                         // 00000000B104: D048004E 00024522
	v_bfe_u32 v228, v34, 16, 1                                 // 00000000B10C: D1C800E4 02052122
	v_add3_u32 v228, v34, v228, v231                           // 00000000B114: D1FF00E4 079FC922
	v_cndmask_b32_e64 v32, v228, v230, s[78:79]                // 00000000B11C: D1000020 013BCDE4
	v_lshrrev_b32_e32 v32, 16, v32                             // 00000000B124: 20404090
	v_cmp_u_f32_e64 s[78:79], v35, v35                         // 00000000B128: D048004E 00024723
	v_bfe_u32 v228, v35, 16, 1                                 // 00000000B130: D1C800E4 02052123
	v_add3_u32 v228, v35, v228, v231                           // 00000000B138: D1FF00E4 079FC923
	v_cndmask_b32_e64 v33, v228, v230, s[78:79]                // 00000000B140: D1000021 013BCDE4
	v_and_or_b32 v56, v33, v229, v32                           // 00000000B148: D2010038 0483CB21
	v_accvgpr_read_b32 v34, a122                               // 00000000B150: D3D84022 1800017A
	v_accvgpr_read_b32 v35, a123                               // 00000000B158: D3D84023 1800017B
	v_mul_f32_e32 v34, s47, v34                                // 00000000B160: 0A44442F
	v_mul_f32_e32 v35, s47, v35                                // 00000000B164: 0A46462F
	v_cmp_u_f32_e64 s[78:79], v34, v34                         // 00000000B168: D048004E 00024522
	v_bfe_u32 v228, v34, 16, 1                                 // 00000000B170: D1C800E4 02052122
	v_add3_u32 v228, v34, v228, v231                           // 00000000B178: D1FF00E4 079FC922
	v_cndmask_b32_e64 v32, v228, v230, s[78:79]                // 00000000B180: D1000020 013BCDE4
	v_lshrrev_b32_e32 v32, 16, v32                             // 00000000B188: 20404090
	v_cmp_u_f32_e64 s[78:79], v35, v35                         // 00000000B18C: D048004E 00024723
	v_bfe_u32 v228, v35, 16, 1                                 // 00000000B194: D1C800E4 02052123
	v_add3_u32 v228, v35, v228, v231                           // 00000000B19C: D1FF00E4 079FC923
	v_cndmask_b32_e64 v33, v228, v230, s[78:79]                // 00000000B1A4: D1000021 013BCDE4
	v_and_or_b32 v57, v33, v229, v32                           // 00000000B1AC: D2010039 0483CB21
	v_accvgpr_read_b32 v34, a124                               // 00000000B1B4: D3D84022 1800017C
	v_accvgpr_read_b32 v35, a125                               // 00000000B1BC: D3D84023 1800017D
	v_mul_f32_e32 v34, s47, v34                                // 00000000B1C4: 0A44442F
	v_mul_f32_e32 v35, s47, v35                                // 00000000B1C8: 0A46462F
	v_cmp_u_f32_e64 s[78:79], v34, v34                         // 00000000B1CC: D048004E 00024522
	v_bfe_u32 v228, v34, 16, 1                                 // 00000000B1D4: D1C800E4 02052122
	v_add3_u32 v228, v34, v228, v231                           // 00000000B1DC: D1FF00E4 079FC922
	v_cndmask_b32_e64 v32, v228, v230, s[78:79]                // 00000000B1E4: D1000020 013BCDE4
	v_lshrrev_b32_e32 v32, 16, v32                             // 00000000B1EC: 20404090
	v_cmp_u_f32_e64 s[78:79], v35, v35                         // 00000000B1F0: D048004E 00024723
	v_bfe_u32 v228, v35, 16, 1                                 // 00000000B1F8: D1C800E4 02052123
	v_add3_u32 v228, v35, v228, v231                           // 00000000B200: D1FF00E4 079FC923
	v_cndmask_b32_e64 v33, v228, v230, s[78:79]                // 00000000B208: D1000021 013BCDE4
	v_and_or_b32 v58, v33, v229, v32                           // 00000000B210: D201003A 0483CB21
	v_accvgpr_read_b32 v34, a126                               // 00000000B218: D3D84022 1800017E
	v_accvgpr_read_b32 v35, a127                               // 00000000B220: D3D84023 1800017F
	v_mul_f32_e32 v34, s47, v34                                // 00000000B228: 0A44442F
	v_mul_f32_e32 v35, s47, v35                                // 00000000B22C: 0A46462F
	v_cmp_u_f32_e64 s[78:79], v34, v34                         // 00000000B230: D048004E 00024522
	v_bfe_u32 v228, v34, 16, 1                                 // 00000000B238: D1C800E4 02052122
	v_add3_u32 v228, v34, v228, v231                           // 00000000B240: D1FF00E4 079FC922
	v_cndmask_b32_e64 v32, v228, v230, s[78:79]                // 00000000B248: D1000020 013BCDE4
	v_lshrrev_b32_e32 v32, 16, v32                             // 00000000B250: 20404090
	v_cmp_u_f32_e64 s[78:79], v35, v35                         // 00000000B254: D048004E 00024723
	v_bfe_u32 v228, v35, 16, 1                                 // 00000000B25C: D1C800E4 02052123
	v_add3_u32 v228, v35, v228, v231                           // 00000000B264: D1FF00E4 079FC923
	v_cndmask_b32_e64 v33, v228, v230, s[78:79]                // 00000000B26C: D1000021 013BCDE4
	v_and_or_b32 v59, v33, v229, v32                           // 00000000B274: D201003B 0483CB21
	ds_write_b64 v27, v[52:53]                                 // 00000000B27C: D89A0000 0000341B
	ds_write_b64 v27, v[54:55] offset:544                      // 00000000B284: D89A0220 0000361B
	ds_write_b64 v27, v[56:57] offset:1088                     // 00000000B28C: D89A0440 0000381B
	ds_write_b64 v27, v[58:59] offset:1632                     // 00000000B294: D89A0660 00003A1B
	s_waitcnt lgkmcnt(0)                                       // 00000000B29C: BF8CC07F
	s_barrier                                                  // 00000000B2A0: BF8A0000
	ds_read_b64 v[52:53], v26                                  // 00000000B2A4: D8EC0000 3400001A
	ds_read_b64 v[54:55], v26 offset:128                       // 00000000B2AC: D8EC0080 3600001A
	ds_read_b64 v[56:57], v26 offset:64                        // 00000000B2B4: D8EC0040 3800001A
	ds_read_b64 v[58:59], v26 offset:192                       // 00000000B2BC: D8EC00C0 3A00001A
	s_waitcnt lgkmcnt(0)                                       // 00000000B2C4: BF8CC07F
	s_mov_b32 s70, s52                                         // 00000000B2C8: BEC60034
	buffer_store_dwordx4 v[52:55], v5, s[36:39], 0 idxen       // 00000000B2CC: E07C2000 80093405
	s_mul_i32 s60, 2, s70                                      // 00000000B2D4: 923C4682
	v_add_u32_e32 v5, s60, v5                                  // 00000000B2D8: 680A0A3C
	buffer_store_dwordx4 v[56:59], v5, s[36:39], 0 idxen       // 00000000B2DC: E07C2000 80093805
	s_mul_i32 s60, 2, s70                                      // 00000000B2E4: 923C4682
	v_add_u32_e32 v5, s60, v5                                  // 00000000B2E8: 680A0A3C
	s_mul_i32 s60, 12, s70                                     // 00000000B2EC: 923C468C
	v_add_u32_e32 v5, s60, v5                                  // 00000000B2F0: 680A0A3C
	s_barrier                                                  // 00000000B2F4: BF8A0000
	s_cmp_ge_i32 1, s72                                        // 00000000B2F8: BF034881
	s_cbranch_scc1 label_1EB6                                  // 00000000B2FC: BF8501D2
	v_accvgpr_read_b32 v34, a128                               // 00000000B300: D3D84022 18000180
	v_accvgpr_read_b32 v35, a129                               // 00000000B308: D3D84023 18000181
	v_mul_f32_e32 v34, s47, v34                                // 00000000B310: 0A44442F
	v_mul_f32_e32 v35, s47, v35                                // 00000000B314: 0A46462F
	v_cmp_u_f32_e64 s[78:79], v34, v34                         // 00000000B318: D048004E 00024522
	v_bfe_u32 v228, v34, 16, 1                                 // 00000000B320: D1C800E4 02052122
	v_add3_u32 v228, v34, v228, v231                           // 00000000B328: D1FF00E4 079FC922
	v_cndmask_b32_e64 v32, v228, v230, s[78:79]                // 00000000B330: D1000020 013BCDE4
	v_lshrrev_b32_e32 v32, 16, v32                             // 00000000B338: 20404090
	v_cmp_u_f32_e64 s[78:79], v35, v35                         // 00000000B33C: D048004E 00024723
	v_bfe_u32 v228, v35, 16, 1                                 // 00000000B344: D1C800E4 02052123
	v_add3_u32 v228, v35, v228, v231                           // 00000000B34C: D1FF00E4 079FC923
	v_cndmask_b32_e64 v33, v228, v230, s[78:79]                // 00000000B354: D1000021 013BCDE4
	v_and_or_b32 v60, v33, v229, v32                           // 00000000B35C: D201003C 0483CB21
	v_accvgpr_read_b32 v34, a130                               // 00000000B364: D3D84022 18000182
	v_accvgpr_read_b32 v35, a131                               // 00000000B36C: D3D84023 18000183
	v_mul_f32_e32 v34, s47, v34                                // 00000000B374: 0A44442F
	v_mul_f32_e32 v35, s47, v35                                // 00000000B378: 0A46462F
	v_cmp_u_f32_e64 s[78:79], v34, v34                         // 00000000B37C: D048004E 00024522
	v_bfe_u32 v228, v34, 16, 1                                 // 00000000B384: D1C800E4 02052122
	v_add3_u32 v228, v34, v228, v231                           // 00000000B38C: D1FF00E4 079FC922
	v_cndmask_b32_e64 v32, v228, v230, s[78:79]                // 00000000B394: D1000020 013BCDE4
	v_lshrrev_b32_e32 v32, 16, v32                             // 00000000B39C: 20404090
	v_cmp_u_f32_e64 s[78:79], v35, v35                         // 00000000B3A0: D048004E 00024723
	v_bfe_u32 v228, v35, 16, 1                                 // 00000000B3A8: D1C800E4 02052123
	v_add3_u32 v228, v35, v228, v231                           // 00000000B3B0: D1FF00E4 079FC923
	v_cndmask_b32_e64 v33, v228, v230, s[78:79]                // 00000000B3B8: D1000021 013BCDE4
	v_and_or_b32 v61, v33, v229, v32                           // 00000000B3C0: D201003D 0483CB21
	v_accvgpr_read_b32 v34, a132                               // 00000000B3C8: D3D84022 18000184
	v_accvgpr_read_b32 v35, a133                               // 00000000B3D0: D3D84023 18000185
	v_mul_f32_e32 v34, s47, v34                                // 00000000B3D8: 0A44442F
	v_mul_f32_e32 v35, s47, v35                                // 00000000B3DC: 0A46462F
	v_cmp_u_f32_e64 s[78:79], v34, v34                         // 00000000B3E0: D048004E 00024522
	v_bfe_u32 v228, v34, 16, 1                                 // 00000000B3E8: D1C800E4 02052122
	v_add3_u32 v228, v34, v228, v231                           // 00000000B3F0: D1FF00E4 079FC922
	v_cndmask_b32_e64 v32, v228, v230, s[78:79]                // 00000000B3F8: D1000020 013BCDE4
	v_lshrrev_b32_e32 v32, 16, v32                             // 00000000B400: 20404090
	v_cmp_u_f32_e64 s[78:79], v35, v35                         // 00000000B404: D048004E 00024723
	v_bfe_u32 v228, v35, 16, 1                                 // 00000000B40C: D1C800E4 02052123
	v_add3_u32 v228, v35, v228, v231                           // 00000000B414: D1FF00E4 079FC923
	v_cndmask_b32_e64 v33, v228, v230, s[78:79]                // 00000000B41C: D1000021 013BCDE4
	v_and_or_b32 v62, v33, v229, v32                           // 00000000B424: D201003E 0483CB21
	v_accvgpr_read_b32 v34, a134                               // 00000000B42C: D3D84022 18000186
	v_accvgpr_read_b32 v35, a135                               // 00000000B434: D3D84023 18000187
	v_mul_f32_e32 v34, s47, v34                                // 00000000B43C: 0A44442F
	v_mul_f32_e32 v35, s47, v35                                // 00000000B440: 0A46462F
	v_cmp_u_f32_e64 s[78:79], v34, v34                         // 00000000B444: D048004E 00024522
	v_bfe_u32 v228, v34, 16, 1                                 // 00000000B44C: D1C800E4 02052122
	v_add3_u32 v228, v34, v228, v231                           // 00000000B454: D1FF00E4 079FC922
	v_cndmask_b32_e64 v32, v228, v230, s[78:79]                // 00000000B45C: D1000020 013BCDE4
	v_lshrrev_b32_e32 v32, 16, v32                             // 00000000B464: 20404090
	v_cmp_u_f32_e64 s[78:79], v35, v35                         // 00000000B468: D048004E 00024723
	v_bfe_u32 v228, v35, 16, 1                                 // 00000000B470: D1C800E4 02052123
	v_add3_u32 v228, v35, v228, v231                           // 00000000B478: D1FF00E4 079FC923
	v_cndmask_b32_e64 v33, v228, v230, s[78:79]                // 00000000B480: D1000021 013BCDE4
	v_and_or_b32 v63, v33, v229, v32                           // 00000000B488: D201003F 0483CB21
	v_accvgpr_read_b32 v34, a136                               // 00000000B490: D3D84022 18000188
	v_accvgpr_read_b32 v35, a137                               // 00000000B498: D3D84023 18000189
	v_mul_f32_e32 v34, s47, v34                                // 00000000B4A0: 0A44442F
	v_mul_f32_e32 v35, s47, v35                                // 00000000B4A4: 0A46462F
	v_cmp_u_f32_e64 s[78:79], v34, v34                         // 00000000B4A8: D048004E 00024522
	v_bfe_u32 v228, v34, 16, 1                                 // 00000000B4B0: D1C800E4 02052122
	v_add3_u32 v228, v34, v228, v231                           // 00000000B4B8: D1FF00E4 079FC922
	v_cndmask_b32_e64 v32, v228, v230, s[78:79]                // 00000000B4C0: D1000020 013BCDE4
	v_lshrrev_b32_e32 v32, 16, v32                             // 00000000B4C8: 20404090
	v_cmp_u_f32_e64 s[78:79], v35, v35                         // 00000000B4CC: D048004E 00024723
	v_bfe_u32 v228, v35, 16, 1                                 // 00000000B4D4: D1C800E4 02052123
	v_add3_u32 v228, v35, v228, v231                           // 00000000B4DC: D1FF00E4 079FC923
	v_cndmask_b32_e64 v33, v228, v230, s[78:79]                // 00000000B4E4: D1000021 013BCDE4
	v_and_or_b32 v64, v33, v229, v32                           // 00000000B4EC: D2010040 0483CB21
	v_accvgpr_read_b32 v34, a138                               // 00000000B4F4: D3D84022 1800018A
	v_accvgpr_read_b32 v35, a139                               // 00000000B4FC: D3D84023 1800018B
	v_mul_f32_e32 v34, s47, v34                                // 00000000B504: 0A44442F
	v_mul_f32_e32 v35, s47, v35                                // 00000000B508: 0A46462F
	v_cmp_u_f32_e64 s[78:79], v34, v34                         // 00000000B50C: D048004E 00024522
	v_bfe_u32 v228, v34, 16, 1                                 // 00000000B514: D1C800E4 02052122
	v_add3_u32 v228, v34, v228, v231                           // 00000000B51C: D1FF00E4 079FC922
	v_cndmask_b32_e64 v32, v228, v230, s[78:79]                // 00000000B524: D1000020 013BCDE4
	v_lshrrev_b32_e32 v32, 16, v32                             // 00000000B52C: 20404090
	v_cmp_u_f32_e64 s[78:79], v35, v35                         // 00000000B530: D048004E 00024723
	v_bfe_u32 v228, v35, 16, 1                                 // 00000000B538: D1C800E4 02052123
	v_add3_u32 v228, v35, v228, v231                           // 00000000B540: D1FF00E4 079FC923
	v_cndmask_b32_e64 v33, v228, v230, s[78:79]                // 00000000B548: D1000021 013BCDE4
	v_and_or_b32 v65, v33, v229, v32                           // 00000000B550: D2010041 0483CB21
	v_accvgpr_read_b32 v34, a140                               // 00000000B558: D3D84022 1800018C
	v_accvgpr_read_b32 v35, a141                               // 00000000B560: D3D84023 1800018D
	v_mul_f32_e32 v34, s47, v34                                // 00000000B568: 0A44442F
	v_mul_f32_e32 v35, s47, v35                                // 00000000B56C: 0A46462F
	v_cmp_u_f32_e64 s[78:79], v34, v34                         // 00000000B570: D048004E 00024522
	v_bfe_u32 v228, v34, 16, 1                                 // 00000000B578: D1C800E4 02052122
	v_add3_u32 v228, v34, v228, v231                           // 00000000B580: D1FF00E4 079FC922
	v_cndmask_b32_e64 v32, v228, v230, s[78:79]                // 00000000B588: D1000020 013BCDE4
	v_lshrrev_b32_e32 v32, 16, v32                             // 00000000B590: 20404090
	v_cmp_u_f32_e64 s[78:79], v35, v35                         // 00000000B594: D048004E 00024723
	v_bfe_u32 v228, v35, 16, 1                                 // 00000000B59C: D1C800E4 02052123
	v_add3_u32 v228, v35, v228, v231                           // 00000000B5A4: D1FF00E4 079FC923
	v_cndmask_b32_e64 v33, v228, v230, s[78:79]                // 00000000B5AC: D1000021 013BCDE4
	v_and_or_b32 v66, v33, v229, v32                           // 00000000B5B4: D2010042 0483CB21
	v_accvgpr_read_b32 v34, a142                               // 00000000B5BC: D3D84022 1800018E
	v_accvgpr_read_b32 v35, a143                               // 00000000B5C4: D3D84023 1800018F
	v_mul_f32_e32 v34, s47, v34                                // 00000000B5CC: 0A44442F
	v_mul_f32_e32 v35, s47, v35                                // 00000000B5D0: 0A46462F
	v_cmp_u_f32_e64 s[78:79], v34, v34                         // 00000000B5D4: D048004E 00024522
	v_bfe_u32 v228, v34, 16, 1                                 // 00000000B5DC: D1C800E4 02052122
	v_add3_u32 v228, v34, v228, v231                           // 00000000B5E4: D1FF00E4 079FC922
	v_cndmask_b32_e64 v32, v228, v230, s[78:79]                // 00000000B5EC: D1000020 013BCDE4
	v_lshrrev_b32_e32 v32, 16, v32                             // 00000000B5F4: 20404090
	v_cmp_u_f32_e64 s[78:79], v35, v35                         // 00000000B5F8: D048004E 00024723
	v_bfe_u32 v228, v35, 16, 1                                 // 00000000B600: D1C800E4 02052123
	v_add3_u32 v228, v35, v228, v231                           // 00000000B608: D1FF00E4 079FC923
	v_cndmask_b32_e64 v33, v228, v230, s[78:79]                // 00000000B610: D1000021 013BCDE4
	v_and_or_b32 v67, v33, v229, v32                           // 00000000B618: D2010043 0483CB21
	ds_write_b64 v27, v[60:61] offset:8704                     // 00000000B620: D89A2200 00003C1B
	ds_write_b64 v27, v[62:63] offset:9248                     // 00000000B628: D89A2420 00003E1B
	ds_write_b64 v27, v[64:65] offset:9792                     // 00000000B630: D89A2640 0000401B
	ds_write_b64 v27, v[66:67] offset:10336                    // 00000000B638: D89A2860 0000421B
	s_waitcnt lgkmcnt(0)                                       // 00000000B640: BF8CC07F
	s_barrier                                                  // 00000000B644: BF8A0000
	ds_read_b64 v[60:61], v26 offset:8704                      // 00000000B648: D8EC2200 3C00001A
	ds_read_b64 v[62:63], v26 offset:8832                      // 00000000B650: D8EC2280 3E00001A
	ds_read_b64 v[64:65], v26 offset:8768                      // 00000000B658: D8EC2240 4000001A
	ds_read_b64 v[66:67], v26 offset:8896                      // 00000000B660: D8EC22C0 4200001A
	s_waitcnt lgkmcnt(0)                                       // 00000000B668: BF8CC07F
	s_mov_b32 s70, s52                                         // 00000000B66C: BEC60034
	buffer_store_dwordx4 v[60:63], v5, s[36:39], 0 idxen       // 00000000B670: E07C2000 80093C05
	s_mul_i32 s60, 2, s70                                      // 00000000B678: 923C4682
	v_add_u32_e32 v5, s60, v5                                  // 00000000B67C: 680A0A3C
	buffer_store_dwordx4 v[64:67], v5, s[36:39], 0 idxen       // 00000000B680: E07C2000 80094005
	s_mul_i32 s60, 2, s70                                      // 00000000B688: 923C4682
	v_add_u32_e32 v5, s60, v5                                  // 00000000B68C: 680A0A3C
	s_mul_i32 s60, 12, s70                                     // 00000000B690: 923C468C
	v_add_u32_e32 v5, s60, v5                                  // 00000000B694: 680A0A3C
	s_barrier                                                  // 00000000B698: BF8A0000
	s_cmp_ge_i32 2, s72                                        // 00000000B69C: BF034882
	s_cbranch_scc1 label_1EB6                                  // 00000000B6A0: BF8500E9
	v_accvgpr_read_b32 v34, a144                               // 00000000B6A4: D3D84022 18000190
	v_accvgpr_read_b32 v35, a145                               // 00000000B6AC: D3D84023 18000191
	v_mul_f32_e32 v34, s47, v34                                // 00000000B6B4: 0A44442F
	v_mul_f32_e32 v35, s47, v35                                // 00000000B6B8: 0A46462F
	v_cmp_u_f32_e64 s[78:79], v34, v34                         // 00000000B6BC: D048004E 00024522
	v_bfe_u32 v228, v34, 16, 1                                 // 00000000B6C4: D1C800E4 02052122
	v_add3_u32 v228, v34, v228, v231                           // 00000000B6CC: D1FF00E4 079FC922
	v_cndmask_b32_e64 v32, v228, v230, s[78:79]                // 00000000B6D4: D1000020 013BCDE4
	v_lshrrev_b32_e32 v32, 16, v32                             // 00000000B6DC: 20404090
	v_cmp_u_f32_e64 s[78:79], v35, v35                         // 00000000B6E0: D048004E 00024723
	v_bfe_u32 v228, v35, 16, 1                                 // 00000000B6E8: D1C800E4 02052123
	v_add3_u32 v228, v35, v228, v231                           // 00000000B6F0: D1FF00E4 079FC923
	v_cndmask_b32_e64 v33, v228, v230, s[78:79]                // 00000000B6F8: D1000021 013BCDE4
	v_and_or_b32 v68, v33, v229, v32                           // 00000000B700: D2010044 0483CB21
	v_accvgpr_read_b32 v34, a146                               // 00000000B708: D3D84022 18000192
	v_accvgpr_read_b32 v35, a147                               // 00000000B710: D3D84023 18000193
	v_mul_f32_e32 v34, s47, v34                                // 00000000B718: 0A44442F
	v_mul_f32_e32 v35, s47, v35                                // 00000000B71C: 0A46462F
	v_cmp_u_f32_e64 s[78:79], v34, v34                         // 00000000B720: D048004E 00024522
	v_bfe_u32 v228, v34, 16, 1                                 // 00000000B728: D1C800E4 02052122
	v_add3_u32 v228, v34, v228, v231                           // 00000000B730: D1FF00E4 079FC922
	v_cndmask_b32_e64 v32, v228, v230, s[78:79]                // 00000000B738: D1000020 013BCDE4
	v_lshrrev_b32_e32 v32, 16, v32                             // 00000000B740: 20404090
	v_cmp_u_f32_e64 s[78:79], v35, v35                         // 00000000B744: D048004E 00024723
	v_bfe_u32 v228, v35, 16, 1                                 // 00000000B74C: D1C800E4 02052123
	v_add3_u32 v228, v35, v228, v231                           // 00000000B754: D1FF00E4 079FC923
	v_cndmask_b32_e64 v33, v228, v230, s[78:79]                // 00000000B75C: D1000021 013BCDE4
	v_and_or_b32 v69, v33, v229, v32                           // 00000000B764: D2010045 0483CB21
	v_accvgpr_read_b32 v34, a148                               // 00000000B76C: D3D84022 18000194
	v_accvgpr_read_b32 v35, a149                               // 00000000B774: D3D84023 18000195
	v_mul_f32_e32 v34, s47, v34                                // 00000000B77C: 0A44442F
	v_mul_f32_e32 v35, s47, v35                                // 00000000B780: 0A46462F
	v_cmp_u_f32_e64 s[78:79], v34, v34                         // 00000000B784: D048004E 00024522
	v_bfe_u32 v228, v34, 16, 1                                 // 00000000B78C: D1C800E4 02052122
	v_add3_u32 v228, v34, v228, v231                           // 00000000B794: D1FF00E4 079FC922
	v_cndmask_b32_e64 v32, v228, v230, s[78:79]                // 00000000B79C: D1000020 013BCDE4
	v_lshrrev_b32_e32 v32, 16, v32                             // 00000000B7A4: 20404090
	v_cmp_u_f32_e64 s[78:79], v35, v35                         // 00000000B7A8: D048004E 00024723
	v_bfe_u32 v228, v35, 16, 1                                 // 00000000B7B0: D1C800E4 02052123
	v_add3_u32 v228, v35, v228, v231                           // 00000000B7B8: D1FF00E4 079FC923
	v_cndmask_b32_e64 v33, v228, v230, s[78:79]                // 00000000B7C0: D1000021 013BCDE4
	v_and_or_b32 v70, v33, v229, v32                           // 00000000B7C8: D2010046 0483CB21
	v_accvgpr_read_b32 v34, a150                               // 00000000B7D0: D3D84022 18000196
	v_accvgpr_read_b32 v35, a151                               // 00000000B7D8: D3D84023 18000197
	v_mul_f32_e32 v34, s47, v34                                // 00000000B7E0: 0A44442F
	v_mul_f32_e32 v35, s47, v35                                // 00000000B7E4: 0A46462F
	v_cmp_u_f32_e64 s[78:79], v34, v34                         // 00000000B7E8: D048004E 00024522
	v_bfe_u32 v228, v34, 16, 1                                 // 00000000B7F0: D1C800E4 02052122
	v_add3_u32 v228, v34, v228, v231                           // 00000000B7F8: D1FF00E4 079FC922
	v_cndmask_b32_e64 v32, v228, v230, s[78:79]                // 00000000B800: D1000020 013BCDE4
	v_lshrrev_b32_e32 v32, 16, v32                             // 00000000B808: 20404090
	v_cmp_u_f32_e64 s[78:79], v35, v35                         // 00000000B80C: D048004E 00024723
	v_bfe_u32 v228, v35, 16, 1                                 // 00000000B814: D1C800E4 02052123
	v_add3_u32 v228, v35, v228, v231                           // 00000000B81C: D1FF00E4 079FC923
	v_cndmask_b32_e64 v33, v228, v230, s[78:79]                // 00000000B824: D1000021 013BCDE4
	v_and_or_b32 v71, v33, v229, v32                           // 00000000B82C: D2010047 0483CB21
	v_accvgpr_read_b32 v34, a152                               // 00000000B834: D3D84022 18000198
	v_accvgpr_read_b32 v35, a153                               // 00000000B83C: D3D84023 18000199
	v_mul_f32_e32 v34, s47, v34                                // 00000000B844: 0A44442F
	v_mul_f32_e32 v35, s47, v35                                // 00000000B848: 0A46462F
	v_cmp_u_f32_e64 s[78:79], v34, v34                         // 00000000B84C: D048004E 00024522
	v_bfe_u32 v228, v34, 16, 1                                 // 00000000B854: D1C800E4 02052122
	v_add3_u32 v228, v34, v228, v231                           // 00000000B85C: D1FF00E4 079FC922
	v_cndmask_b32_e64 v32, v228, v230, s[78:79]                // 00000000B864: D1000020 013BCDE4
	v_lshrrev_b32_e32 v32, 16, v32                             // 00000000B86C: 20404090
	v_cmp_u_f32_e64 s[78:79], v35, v35                         // 00000000B870: D048004E 00024723
	v_bfe_u32 v228, v35, 16, 1                                 // 00000000B878: D1C800E4 02052123
	v_add3_u32 v228, v35, v228, v231                           // 00000000B880: D1FF00E4 079FC923
	v_cndmask_b32_e64 v33, v228, v230, s[78:79]                // 00000000B888: D1000021 013BCDE4
	v_and_or_b32 v72, v33, v229, v32                           // 00000000B890: D2010048 0483CB21
	v_accvgpr_read_b32 v34, a154                               // 00000000B898: D3D84022 1800019A
	v_accvgpr_read_b32 v35, a155                               // 00000000B8A0: D3D84023 1800019B
	v_mul_f32_e32 v34, s47, v34                                // 00000000B8A8: 0A44442F
	v_mul_f32_e32 v35, s47, v35                                // 00000000B8AC: 0A46462F
	v_cmp_u_f32_e64 s[78:79], v34, v34                         // 00000000B8B0: D048004E 00024522
	v_bfe_u32 v228, v34, 16, 1                                 // 00000000B8B8: D1C800E4 02052122
	v_add3_u32 v228, v34, v228, v231                           // 00000000B8C0: D1FF00E4 079FC922
	v_cndmask_b32_e64 v32, v228, v230, s[78:79]                // 00000000B8C8: D1000020 013BCDE4
	v_lshrrev_b32_e32 v32, 16, v32                             // 00000000B8D0: 20404090
	v_cmp_u_f32_e64 s[78:79], v35, v35                         // 00000000B8D4: D048004E 00024723
	v_bfe_u32 v228, v35, 16, 1                                 // 00000000B8DC: D1C800E4 02052123
	v_add3_u32 v228, v35, v228, v231                           // 00000000B8E4: D1FF00E4 079FC923
	v_cndmask_b32_e64 v33, v228, v230, s[78:79]                // 00000000B8EC: D1000021 013BCDE4
	v_and_or_b32 v73, v33, v229, v32                           // 00000000B8F4: D2010049 0483CB21
	v_accvgpr_read_b32 v34, a156                               // 00000000B8FC: D3D84022 1800019C
	v_accvgpr_read_b32 v35, a157                               // 00000000B904: D3D84023 1800019D
	v_mul_f32_e32 v34, s47, v34                                // 00000000B90C: 0A44442F
	v_mul_f32_e32 v35, s47, v35                                // 00000000B910: 0A46462F
	v_cmp_u_f32_e64 s[78:79], v34, v34                         // 00000000B914: D048004E 00024522
	v_bfe_u32 v228, v34, 16, 1                                 // 00000000B91C: D1C800E4 02052122
	v_add3_u32 v228, v34, v228, v231                           // 00000000B924: D1FF00E4 079FC922
	v_cndmask_b32_e64 v32, v228, v230, s[78:79]                // 00000000B92C: D1000020 013BCDE4
	v_lshrrev_b32_e32 v32, 16, v32                             // 00000000B934: 20404090
	v_cmp_u_f32_e64 s[78:79], v35, v35                         // 00000000B938: D048004E 00024723
	v_bfe_u32 v228, v35, 16, 1                                 // 00000000B940: D1C800E4 02052123
	v_add3_u32 v228, v35, v228, v231                           // 00000000B948: D1FF00E4 079FC923
	v_cndmask_b32_e64 v33, v228, v230, s[78:79]                // 00000000B950: D1000021 013BCDE4
	v_and_or_b32 v74, v33, v229, v32                           // 00000000B958: D201004A 0483CB21
	v_accvgpr_read_b32 v34, a158                               // 00000000B960: D3D84022 1800019E
	v_accvgpr_read_b32 v35, a159                               // 00000000B968: D3D84023 1800019F
	v_mul_f32_e32 v34, s47, v34                                // 00000000B970: 0A44442F
	v_mul_f32_e32 v35, s47, v35                                // 00000000B974: 0A46462F
	v_cmp_u_f32_e64 s[78:79], v34, v34                         // 00000000B978: D048004E 00024522
	v_bfe_u32 v228, v34, 16, 1                                 // 00000000B980: D1C800E4 02052122
	v_add3_u32 v228, v34, v228, v231                           // 00000000B988: D1FF00E4 079FC922
	v_cndmask_b32_e64 v32, v228, v230, s[78:79]                // 00000000B990: D1000020 013BCDE4
	v_lshrrev_b32_e32 v32, 16, v32                             // 00000000B998: 20404090
	v_cmp_u_f32_e64 s[78:79], v35, v35                         // 00000000B99C: D048004E 00024723
	v_bfe_u32 v228, v35, 16, 1                                 // 00000000B9A4: D1C800E4 02052123
	v_add3_u32 v228, v35, v228, v231                           // 00000000B9AC: D1FF00E4 079FC923
	v_cndmask_b32_e64 v33, v228, v230, s[78:79]                // 00000000B9B4: D1000021 013BCDE4
	v_and_or_b32 v75, v33, v229, v32                           // 00000000B9BC: D201004B 0483CB21
	ds_write_b64 v27, v[68:69] offset:17408                    // 00000000B9C4: D89A4400 0000441B
	ds_write_b64 v27, v[70:71] offset:17952                    // 00000000B9CC: D89A4620 0000461B
	ds_write_b64 v27, v[72:73] offset:18496                    // 00000000B9D4: D89A4840 0000481B
	ds_write_b64 v27, v[74:75] offset:19040                    // 00000000B9DC: D89A4A60 00004A1B
	s_waitcnt lgkmcnt(0)                                       // 00000000B9E4: BF8CC07F
	s_barrier                                                  // 00000000B9E8: BF8A0000
	ds_read_b64 v[68:69], v26 offset:17408                     // 00000000B9EC: D8EC4400 4400001A
	ds_read_b64 v[70:71], v26 offset:17536                     // 00000000B9F4: D8EC4480 4600001A
	ds_read_b64 v[72:73], v26 offset:17472                     // 00000000B9FC: D8EC4440 4800001A
	ds_read_b64 v[74:75], v26 offset:17600                     // 00000000BA04: D8EC44C0 4A00001A
	s_waitcnt lgkmcnt(0)                                       // 00000000BA0C: BF8CC07F
	s_mov_b32 s70, s52                                         // 00000000BA10: BEC60034
	buffer_store_dwordx4 v[68:71], v5, s[36:39], 0 idxen       // 00000000BA14: E07C2000 80094405
	s_mul_i32 s60, 2, s70                                      // 00000000BA1C: 923C4682
	v_add_u32_e32 v5, s60, v5                                  // 00000000BA20: 680A0A3C
	buffer_store_dwordx4 v[72:75], v5, s[36:39], 0 idxen       // 00000000BA24: E07C2000 80094805
	s_mul_i32 s60, 2, s70                                      // 00000000BA2C: 923C4682
	v_add_u32_e32 v5, s60, v5                                  // 00000000BA30: 680A0A3C
	s_mul_i32 s60, 12, s70                                     // 00000000BA34: 923C468C
	v_add_u32_e32 v5, s60, v5                                  // 00000000BA38: 680A0A3C
	s_barrier                                                  // 00000000BA3C: BF8A0000
	s_cmp_ge_i32 3, s72                                        // 00000000BA40: BF034883
	s_cbranch_scc1 label_1EB6                                  // 00000000BA44: BF850000

000000000000ba48 <label_1EB6>:
	v_mov_b32_e32 v34, v180                                    // 00000000BA48: 7E4403B4
	v_mov_b32_e32 v35, v181                                    // 00000000BA4C: 7E4603B5
	v_cmp_u_f32_e64 s[78:79], v34, v34                         // 00000000BA50: D048004E 00024522
	v_bfe_u32 v228, v34, 16, 1                                 // 00000000BA58: D1C800E4 02052122
	v_add3_u32 v228, v34, v228, v231                           // 00000000BA60: D1FF00E4 079FC922
	v_cndmask_b32_e64 v32, v228, v230, s[78:79]                // 00000000BA68: D1000020 013BCDE4
	v_lshrrev_b32_e32 v32, 16, v32                             // 00000000BA70: 20404090
	v_cmp_u_f32_e64 s[78:79], v35, v35                         // 00000000BA74: D048004E 00024723
	v_bfe_u32 v228, v35, 16, 1                                 // 00000000BA7C: D1C800E4 02052123
	v_add3_u32 v228, v35, v228, v231                           // 00000000BA84: D1FF00E4 079FC923
	v_cndmask_b32_e64 v33, v228, v230, s[78:79]                // 00000000BA8C: D1000021 013BCDE4
	v_and_or_b32 v180, v33, v229, v32                          // 00000000BA94: D20100B4 0483CB21
	v_mov_b32_e32 v34, v182                                    // 00000000BA9C: 7E4403B6
	v_mov_b32_e32 v35, v183                                    // 00000000BAA0: 7E4603B7
	v_cmp_u_f32_e64 s[78:79], v34, v34                         // 00000000BAA4: D048004E 00024522
	v_bfe_u32 v228, v34, 16, 1                                 // 00000000BAAC: D1C800E4 02052122
	v_add3_u32 v228, v34, v228, v231                           // 00000000BAB4: D1FF00E4 079FC922
	v_cndmask_b32_e64 v32, v228, v230, s[78:79]                // 00000000BABC: D1000020 013BCDE4
	v_lshrrev_b32_e32 v32, 16, v32                             // 00000000BAC4: 20404090
	v_cmp_u_f32_e64 s[78:79], v35, v35                         // 00000000BAC8: D048004E 00024723
	v_bfe_u32 v228, v35, 16, 1                                 // 00000000BAD0: D1C800E4 02052123
	v_add3_u32 v228, v35, v228, v231                           // 00000000BAD8: D1FF00E4 079FC923
	v_cndmask_b32_e64 v33, v228, v230, s[78:79]                // 00000000BAE0: D1000021 013BCDE4
	v_and_or_b32 v181, v33, v229, v32                          // 00000000BAE8: D20100B5 0483CB21
	v_mov_b32_e32 v34, v184                                    // 00000000BAF0: 7E4403B8
	v_mov_b32_e32 v35, v185                                    // 00000000BAF4: 7E4603B9
	v_cmp_u_f32_e64 s[78:79], v34, v34                         // 00000000BAF8: D048004E 00024522
	v_bfe_u32 v228, v34, 16, 1                                 // 00000000BB00: D1C800E4 02052122
	v_add3_u32 v228, v34, v228, v231                           // 00000000BB08: D1FF00E4 079FC922
	v_cndmask_b32_e64 v32, v228, v230, s[78:79]                // 00000000BB10: D1000020 013BCDE4
	v_lshrrev_b32_e32 v32, 16, v32                             // 00000000BB18: 20404090
	v_cmp_u_f32_e64 s[78:79], v35, v35                         // 00000000BB1C: D048004E 00024723
	v_bfe_u32 v228, v35, 16, 1                                 // 00000000BB24: D1C800E4 02052123
	v_add3_u32 v228, v35, v228, v231                           // 00000000BB2C: D1FF00E4 079FC923
	v_cndmask_b32_e64 v33, v228, v230, s[78:79]                // 00000000BB34: D1000021 013BCDE4
	v_and_or_b32 v182, v33, v229, v32                          // 00000000BB3C: D20100B6 0483CB21
	v_mov_b32_e32 v34, v186                                    // 00000000BB44: 7E4403BA
	v_mov_b32_e32 v35, v187                                    // 00000000BB48: 7E4603BB
	v_cmp_u_f32_e64 s[78:79], v34, v34                         // 00000000BB4C: D048004E 00024522
	v_bfe_u32 v228, v34, 16, 1                                 // 00000000BB54: D1C800E4 02052122
	v_add3_u32 v228, v34, v228, v231                           // 00000000BB5C: D1FF00E4 079FC922
	v_cndmask_b32_e64 v32, v228, v230, s[78:79]                // 00000000BB64: D1000020 013BCDE4
	v_lshrrev_b32_e32 v32, 16, v32                             // 00000000BB6C: 20404090
	v_cmp_u_f32_e64 s[78:79], v35, v35                         // 00000000BB70: D048004E 00024723
	v_bfe_u32 v228, v35, 16, 1                                 // 00000000BB78: D1C800E4 02052123
	v_add3_u32 v228, v35, v228, v231                           // 00000000BB80: D1FF00E4 079FC923
	v_cndmask_b32_e64 v33, v228, v230, s[78:79]                // 00000000BB88: D1000021 013BCDE4
	v_and_or_b32 v183, v33, v229, v32                          // 00000000BB90: D20100B7 0483CB21
	v_mov_b32_e32 v34, v188                                    // 00000000BB98: 7E4403BC
	v_mov_b32_e32 v35, v189                                    // 00000000BB9C: 7E4603BD
	v_cmp_u_f32_e64 s[78:79], v34, v34                         // 00000000BBA0: D048004E 00024522
	v_bfe_u32 v228, v34, 16, 1                                 // 00000000BBA8: D1C800E4 02052122
	v_add3_u32 v228, v34, v228, v231                           // 00000000BBB0: D1FF00E4 079FC922
	v_cndmask_b32_e64 v32, v228, v230, s[78:79]                // 00000000BBB8: D1000020 013BCDE4
	v_lshrrev_b32_e32 v32, 16, v32                             // 00000000BBC0: 20404090
	v_cmp_u_f32_e64 s[78:79], v35, v35                         // 00000000BBC4: D048004E 00024723
	v_bfe_u32 v228, v35, 16, 1                                 // 00000000BBCC: D1C800E4 02052123
	v_add3_u32 v228, v35, v228, v231                           // 00000000BBD4: D1FF00E4 079FC923
	v_cndmask_b32_e64 v33, v228, v230, s[78:79]                // 00000000BBDC: D1000021 013BCDE4
	v_and_or_b32 v184, v33, v229, v32                          // 00000000BBE4: D20100B8 0483CB21
	v_mov_b32_e32 v34, v190                                    // 00000000BBEC: 7E4403BE
	v_mov_b32_e32 v35, v191                                    // 00000000BBF0: 7E4603BF
	v_cmp_u_f32_e64 s[78:79], v34, v34                         // 00000000BBF4: D048004E 00024522
	v_bfe_u32 v228, v34, 16, 1                                 // 00000000BBFC: D1C800E4 02052122
	v_add3_u32 v228, v34, v228, v231                           // 00000000BC04: D1FF00E4 079FC922
	v_cndmask_b32_e64 v32, v228, v230, s[78:79]                // 00000000BC0C: D1000020 013BCDE4
	v_lshrrev_b32_e32 v32, 16, v32                             // 00000000BC14: 20404090
	v_cmp_u_f32_e64 s[78:79], v35, v35                         // 00000000BC18: D048004E 00024723
	v_bfe_u32 v228, v35, 16, 1                                 // 00000000BC20: D1C800E4 02052123
	v_add3_u32 v228, v35, v228, v231                           // 00000000BC28: D1FF00E4 079FC923
	v_cndmask_b32_e64 v33, v228, v230, s[78:79]                // 00000000BC30: D1000021 013BCDE4
	v_and_or_b32 v185, v33, v229, v32                          // 00000000BC38: D20100B9 0483CB21
	v_mov_b32_e32 v34, v192                                    // 00000000BC40: 7E4403C0
	v_mov_b32_e32 v35, v193                                    // 00000000BC44: 7E4603C1
	v_cmp_u_f32_e64 s[78:79], v34, v34                         // 00000000BC48: D048004E 00024522
	v_bfe_u32 v228, v34, 16, 1                                 // 00000000BC50: D1C800E4 02052122
	v_add3_u32 v228, v34, v228, v231                           // 00000000BC58: D1FF00E4 079FC922
	v_cndmask_b32_e64 v32, v228, v230, s[78:79]                // 00000000BC60: D1000020 013BCDE4
	v_lshrrev_b32_e32 v32, 16, v32                             // 00000000BC68: 20404090
	v_cmp_u_f32_e64 s[78:79], v35, v35                         // 00000000BC6C: D048004E 00024723
	v_bfe_u32 v228, v35, 16, 1                                 // 00000000BC74: D1C800E4 02052123
	v_add3_u32 v228, v35, v228, v231                           // 00000000BC7C: D1FF00E4 079FC923
	v_cndmask_b32_e64 v33, v228, v230, s[78:79]                // 00000000BC84: D1000021 013BCDE4
	v_and_or_b32 v186, v33, v229, v32                          // 00000000BC8C: D20100BA 0483CB21
	v_mov_b32_e32 v34, v194                                    // 00000000BC94: 7E4403C2
	v_mov_b32_e32 v35, v195                                    // 00000000BC98: 7E4603C3
	v_cmp_u_f32_e64 s[78:79], v34, v34                         // 00000000BC9C: D048004E 00024522
	v_bfe_u32 v228, v34, 16, 1                                 // 00000000BCA4: D1C800E4 02052122
	v_add3_u32 v228, v34, v228, v231                           // 00000000BCAC: D1FF00E4 079FC922
	v_cndmask_b32_e64 v32, v228, v230, s[78:79]                // 00000000BCB4: D1000020 013BCDE4
	v_lshrrev_b32_e32 v32, 16, v32                             // 00000000BCBC: 20404090
	v_cmp_u_f32_e64 s[78:79], v35, v35                         // 00000000BCC0: D048004E 00024723
	v_bfe_u32 v228, v35, 16, 1                                 // 00000000BCC8: D1C800E4 02052123
	v_add3_u32 v228, v35, v228, v231                           // 00000000BCD0: D1FF00E4 079FC923
	v_cndmask_b32_e64 v33, v228, v230, s[78:79]                // 00000000BCD8: D1000021 013BCDE4
	v_and_or_b32 v187, v33, v229, v32                          // 00000000BCE0: D20100BB 0483CB21
	ds_write_b64 v27, v[180:181]                               // 00000000BCE8: D89A0000 0000B41B
	ds_write_b64 v27, v[182:183] offset:544                    // 00000000BCF0: D89A0220 0000B61B
	ds_write_b64 v27, v[184:185] offset:1088                   // 00000000BCF8: D89A0440 0000B81B
	ds_write_b64 v27, v[186:187] offset:1632                   // 00000000BD00: D89A0660 0000BA1B
	s_waitcnt lgkmcnt(0)                                       // 00000000BD08: BF8CC07F
	s_barrier                                                  // 00000000BD0C: BF8A0000
	ds_read_b64 v[180:181], v26                                // 00000000BD10: D8EC0000 B400001A
	ds_read_b64 v[182:183], v26 offset:128                     // 00000000BD18: D8EC0080 B600001A
	ds_read_b64 v[184:185], v26 offset:64                      // 00000000BD20: D8EC0040 B800001A
	ds_read_b64 v[186:187], v26 offset:192                     // 00000000BD28: D8EC00C0 BA00001A
	s_waitcnt lgkmcnt(0)                                       // 00000000BD30: BF8CC07F
	s_mov_b32 s70, s53                                         // 00000000BD34: BEC60035
	buffer_store_dwordx4 v[180:183], v10, s[40:43], 0 idxen    // 00000000BD38: E07C2000 800AB40A
	s_mul_i32 s60, 2, s70                                      // 00000000BD40: 923C4682
	v_add_u32_e32 v10, s60, v10                                // 00000000BD44: 6814143C
	buffer_store_dwordx4 v[184:187], v10, s[40:43], 0 idxen    // 00000000BD48: E07C2000 800AB80A
	s_mul_i32 s60, 2, s70                                      // 00000000BD50: 923C4682
	v_add_u32_e32 v10, s60, v10                                // 00000000BD54: 6814143C
	s_mul_i32 s60, 12, s70                                     // 00000000BD58: 923C468C
	v_add_u32_e32 v10, s60, v10                                // 00000000BD5C: 6814143C
	s_cmp_ge_i32 1, s72                                        // 00000000BD60: BF034881
	s_cbranch_scc1 label_210E                                  // 00000000BD64: BF850190
	v_mov_b32_e32 v34, v196                                    // 00000000BD68: 7E4403C4
	v_mov_b32_e32 v35, v197                                    // 00000000BD6C: 7E4603C5
	v_cmp_u_f32_e64 s[78:79], v34, v34                         // 00000000BD70: D048004E 00024522
	v_bfe_u32 v228, v34, 16, 1                                 // 00000000BD78: D1C800E4 02052122
	v_add3_u32 v228, v34, v228, v231                           // 00000000BD80: D1FF00E4 079FC922
	v_cndmask_b32_e64 v32, v228, v230, s[78:79]                // 00000000BD88: D1000020 013BCDE4
	v_lshrrev_b32_e32 v32, 16, v32                             // 00000000BD90: 20404090
	v_cmp_u_f32_e64 s[78:79], v35, v35                         // 00000000BD94: D048004E 00024723
	v_bfe_u32 v228, v35, 16, 1                                 // 00000000BD9C: D1C800E4 02052123
	v_add3_u32 v228, v35, v228, v231                           // 00000000BDA4: D1FF00E4 079FC923
	v_cndmask_b32_e64 v33, v228, v230, s[78:79]                // 00000000BDAC: D1000021 013BCDE4
	v_and_or_b32 v188, v33, v229, v32                          // 00000000BDB4: D20100BC 0483CB21
	v_mov_b32_e32 v34, v198                                    // 00000000BDBC: 7E4403C6
	v_mov_b32_e32 v35, v199                                    // 00000000BDC0: 7E4603C7
	v_cmp_u_f32_e64 s[78:79], v34, v34                         // 00000000BDC4: D048004E 00024522
	v_bfe_u32 v228, v34, 16, 1                                 // 00000000BDCC: D1C800E4 02052122
	v_add3_u32 v228, v34, v228, v231                           // 00000000BDD4: D1FF00E4 079FC922
	v_cndmask_b32_e64 v32, v228, v230, s[78:79]                // 00000000BDDC: D1000020 013BCDE4
	v_lshrrev_b32_e32 v32, 16, v32                             // 00000000BDE4: 20404090
	v_cmp_u_f32_e64 s[78:79], v35, v35                         // 00000000BDE8: D048004E 00024723
	v_bfe_u32 v228, v35, 16, 1                                 // 00000000BDF0: D1C800E4 02052123
	v_add3_u32 v228, v35, v228, v231                           // 00000000BDF8: D1FF00E4 079FC923
	v_cndmask_b32_e64 v33, v228, v230, s[78:79]                // 00000000BE00: D1000021 013BCDE4
	v_and_or_b32 v189, v33, v229, v32                          // 00000000BE08: D20100BD 0483CB21
	v_mov_b32_e32 v34, v200                                    // 00000000BE10: 7E4403C8
	v_mov_b32_e32 v35, v201                                    // 00000000BE14: 7E4603C9
	v_cmp_u_f32_e64 s[78:79], v34, v34                         // 00000000BE18: D048004E 00024522
	v_bfe_u32 v228, v34, 16, 1                                 // 00000000BE20: D1C800E4 02052122
	v_add3_u32 v228, v34, v228, v231                           // 00000000BE28: D1FF00E4 079FC922
	v_cndmask_b32_e64 v32, v228, v230, s[78:79]                // 00000000BE30: D1000020 013BCDE4
	v_lshrrev_b32_e32 v32, 16, v32                             // 00000000BE38: 20404090
	v_cmp_u_f32_e64 s[78:79], v35, v35                         // 00000000BE3C: D048004E 00024723
	v_bfe_u32 v228, v35, 16, 1                                 // 00000000BE44: D1C800E4 02052123
	v_add3_u32 v228, v35, v228, v231                           // 00000000BE4C: D1FF00E4 079FC923
	v_cndmask_b32_e64 v33, v228, v230, s[78:79]                // 00000000BE54: D1000021 013BCDE4
	v_and_or_b32 v190, v33, v229, v32                          // 00000000BE5C: D20100BE 0483CB21
	v_mov_b32_e32 v34, v202                                    // 00000000BE64: 7E4403CA
	v_mov_b32_e32 v35, v203                                    // 00000000BE68: 7E4603CB
	v_cmp_u_f32_e64 s[78:79], v34, v34                         // 00000000BE6C: D048004E 00024522
	v_bfe_u32 v228, v34, 16, 1                                 // 00000000BE74: D1C800E4 02052122
	v_add3_u32 v228, v34, v228, v231                           // 00000000BE7C: D1FF00E4 079FC922
	v_cndmask_b32_e64 v32, v228, v230, s[78:79]                // 00000000BE84: D1000020 013BCDE4
	v_lshrrev_b32_e32 v32, 16, v32                             // 00000000BE8C: 20404090
	v_cmp_u_f32_e64 s[78:79], v35, v35                         // 00000000BE90: D048004E 00024723
	v_bfe_u32 v228, v35, 16, 1                                 // 00000000BE98: D1C800E4 02052123
	v_add3_u32 v228, v35, v228, v231                           // 00000000BEA0: D1FF00E4 079FC923
	v_cndmask_b32_e64 v33, v228, v230, s[78:79]                // 00000000BEA8: D1000021 013BCDE4
	v_and_or_b32 v191, v33, v229, v32                          // 00000000BEB0: D20100BF 0483CB21
	v_mov_b32_e32 v34, v204                                    // 00000000BEB8: 7E4403CC
	v_mov_b32_e32 v35, v205                                    // 00000000BEBC: 7E4603CD
	v_cmp_u_f32_e64 s[78:79], v34, v34                         // 00000000BEC0: D048004E 00024522
	v_bfe_u32 v228, v34, 16, 1                                 // 00000000BEC8: D1C800E4 02052122
	v_add3_u32 v228, v34, v228, v231                           // 00000000BED0: D1FF00E4 079FC922
	v_cndmask_b32_e64 v32, v228, v230, s[78:79]                // 00000000BED8: D1000020 013BCDE4
	v_lshrrev_b32_e32 v32, 16, v32                             // 00000000BEE0: 20404090
	v_cmp_u_f32_e64 s[78:79], v35, v35                         // 00000000BEE4: D048004E 00024723
	v_bfe_u32 v228, v35, 16, 1                                 // 00000000BEEC: D1C800E4 02052123
	v_add3_u32 v228, v35, v228, v231                           // 00000000BEF4: D1FF00E4 079FC923
	v_cndmask_b32_e64 v33, v228, v230, s[78:79]                // 00000000BEFC: D1000021 013BCDE4
	v_and_or_b32 v192, v33, v229, v32                          // 00000000BF04: D20100C0 0483CB21
	v_mov_b32_e32 v34, v206                                    // 00000000BF0C: 7E4403CE
	v_mov_b32_e32 v35, v207                                    // 00000000BF10: 7E4603CF
	v_cmp_u_f32_e64 s[78:79], v34, v34                         // 00000000BF14: D048004E 00024522
	v_bfe_u32 v228, v34, 16, 1                                 // 00000000BF1C: D1C800E4 02052122
	v_add3_u32 v228, v34, v228, v231                           // 00000000BF24: D1FF00E4 079FC922
	v_cndmask_b32_e64 v32, v228, v230, s[78:79]                // 00000000BF2C: D1000020 013BCDE4
	v_lshrrev_b32_e32 v32, 16, v32                             // 00000000BF34: 20404090
	v_cmp_u_f32_e64 s[78:79], v35, v35                         // 00000000BF38: D048004E 00024723
	v_bfe_u32 v228, v35, 16, 1                                 // 00000000BF40: D1C800E4 02052123
	v_add3_u32 v228, v35, v228, v231                           // 00000000BF48: D1FF00E4 079FC923
	v_cndmask_b32_e64 v33, v228, v230, s[78:79]                // 00000000BF50: D1000021 013BCDE4
	v_and_or_b32 v193, v33, v229, v32                          // 00000000BF58: D20100C1 0483CB21
	v_mov_b32_e32 v34, v208                                    // 00000000BF60: 7E4403D0
	v_mov_b32_e32 v35, v209                                    // 00000000BF64: 7E4603D1
	v_cmp_u_f32_e64 s[78:79], v34, v34                         // 00000000BF68: D048004E 00024522
	v_bfe_u32 v228, v34, 16, 1                                 // 00000000BF70: D1C800E4 02052122
	v_add3_u32 v228, v34, v228, v231                           // 00000000BF78: D1FF00E4 079FC922
	v_cndmask_b32_e64 v32, v228, v230, s[78:79]                // 00000000BF80: D1000020 013BCDE4
	v_lshrrev_b32_e32 v32, 16, v32                             // 00000000BF88: 20404090
	v_cmp_u_f32_e64 s[78:79], v35, v35                         // 00000000BF8C: D048004E 00024723
	v_bfe_u32 v228, v35, 16, 1                                 // 00000000BF94: D1C800E4 02052123
	v_add3_u32 v228, v35, v228, v231                           // 00000000BF9C: D1FF00E4 079FC923
	v_cndmask_b32_e64 v33, v228, v230, s[78:79]                // 00000000BFA4: D1000021 013BCDE4
	v_and_or_b32 v194, v33, v229, v32                          // 00000000BFAC: D20100C2 0483CB21
	v_mov_b32_e32 v34, v210                                    // 00000000BFB4: 7E4403D2
	v_mov_b32_e32 v35, v211                                    // 00000000BFB8: 7E4603D3
	v_cmp_u_f32_e64 s[78:79], v34, v34                         // 00000000BFBC: D048004E 00024522
	v_bfe_u32 v228, v34, 16, 1                                 // 00000000BFC4: D1C800E4 02052122
	v_add3_u32 v228, v34, v228, v231                           // 00000000BFCC: D1FF00E4 079FC922
	v_cndmask_b32_e64 v32, v228, v230, s[78:79]                // 00000000BFD4: D1000020 013BCDE4
	v_lshrrev_b32_e32 v32, 16, v32                             // 00000000BFDC: 20404090
	v_cmp_u_f32_e64 s[78:79], v35, v35                         // 00000000BFE0: D048004E 00024723
	v_bfe_u32 v228, v35, 16, 1                                 // 00000000BFE8: D1C800E4 02052123
	v_add3_u32 v228, v35, v228, v231                           // 00000000BFF0: D1FF00E4 079FC923
	v_cndmask_b32_e64 v33, v228, v230, s[78:79]                // 00000000BFF8: D1000021 013BCDE4
	v_and_or_b32 v195, v33, v229, v32                          // 00000000C000: D20100C3 0483CB21
	ds_write_b64 v27, v[188:189] offset:8704                   // 00000000C008: D89A2200 0000BC1B
	ds_write_b64 v27, v[190:191] offset:9248                   // 00000000C010: D89A2420 0000BE1B
	ds_write_b64 v27, v[192:193] offset:9792                   // 00000000C018: D89A2640 0000C01B
	ds_write_b64 v27, v[194:195] offset:10336                  // 00000000C020: D89A2860 0000C21B
	s_waitcnt lgkmcnt(0)                                       // 00000000C028: BF8CC07F
	s_barrier                                                  // 00000000C02C: BF8A0000
	ds_read_b64 v[188:189], v26 offset:8704                    // 00000000C030: D8EC2200 BC00001A
	ds_read_b64 v[190:191], v26 offset:8832                    // 00000000C038: D8EC2280 BE00001A
	ds_read_b64 v[192:193], v26 offset:8768                    // 00000000C040: D8EC2240 C000001A
	ds_read_b64 v[194:195], v26 offset:8896                    // 00000000C048: D8EC22C0 C200001A
	s_waitcnt lgkmcnt(0)                                       // 00000000C050: BF8CC07F
	s_mov_b32 s70, s53                                         // 00000000C054: BEC60035
	buffer_store_dwordx4 v[188:191], v10, s[40:43], 0 idxen    // 00000000C058: E07C2000 800ABC0A
	s_mul_i32 s60, 2, s70                                      // 00000000C060: 923C4682
	v_add_u32_e32 v10, s60, v10                                // 00000000C064: 6814143C
	buffer_store_dwordx4 v[192:195], v10, s[40:43], 0 idxen    // 00000000C068: E07C2000 800AC00A
	s_mul_i32 s60, 2, s70                                      // 00000000C070: 923C4682
	v_add_u32_e32 v10, s60, v10                                // 00000000C074: 6814143C
	s_mul_i32 s60, 12, s70                                     // 00000000C078: 923C468C
	v_add_u32_e32 v10, s60, v10                                // 00000000C07C: 6814143C
	s_cmp_ge_i32 2, s72                                        // 00000000C080: BF034882
	s_cbranch_scc1 label_210E                                  // 00000000C084: BF8500C8
	v_mov_b32_e32 v34, v212                                    // 00000000C088: 7E4403D4
	v_mov_b32_e32 v35, v213                                    // 00000000C08C: 7E4603D5
	v_cmp_u_f32_e64 s[78:79], v34, v34                         // 00000000C090: D048004E 00024522
	v_bfe_u32 v228, v34, 16, 1                                 // 00000000C098: D1C800E4 02052122
	v_add3_u32 v228, v34, v228, v231                           // 00000000C0A0: D1FF00E4 079FC922
	v_cndmask_b32_e64 v32, v228, v230, s[78:79]                // 00000000C0A8: D1000020 013BCDE4
	v_lshrrev_b32_e32 v32, 16, v32                             // 00000000C0B0: 20404090
	v_cmp_u_f32_e64 s[78:79], v35, v35                         // 00000000C0B4: D048004E 00024723
	v_bfe_u32 v228, v35, 16, 1                                 // 00000000C0BC: D1C800E4 02052123
	v_add3_u32 v228, v35, v228, v231                           // 00000000C0C4: D1FF00E4 079FC923
	v_cndmask_b32_e64 v33, v228, v230, s[78:79]                // 00000000C0CC: D1000021 013BCDE4
	v_and_or_b32 v196, v33, v229, v32                          // 00000000C0D4: D20100C4 0483CB21
	v_mov_b32_e32 v34, v214                                    // 00000000C0DC: 7E4403D6
	v_mov_b32_e32 v35, v215                                    // 00000000C0E0: 7E4603D7
	v_cmp_u_f32_e64 s[78:79], v34, v34                         // 00000000C0E4: D048004E 00024522
	v_bfe_u32 v228, v34, 16, 1                                 // 00000000C0EC: D1C800E4 02052122
	v_add3_u32 v228, v34, v228, v231                           // 00000000C0F4: D1FF00E4 079FC922
	v_cndmask_b32_e64 v32, v228, v230, s[78:79]                // 00000000C0FC: D1000020 013BCDE4
	v_lshrrev_b32_e32 v32, 16, v32                             // 00000000C104: 20404090
	v_cmp_u_f32_e64 s[78:79], v35, v35                         // 00000000C108: D048004E 00024723
	v_bfe_u32 v228, v35, 16, 1                                 // 00000000C110: D1C800E4 02052123
	v_add3_u32 v228, v35, v228, v231                           // 00000000C118: D1FF00E4 079FC923
	v_cndmask_b32_e64 v33, v228, v230, s[78:79]                // 00000000C120: D1000021 013BCDE4
	v_and_or_b32 v197, v33, v229, v32                          // 00000000C128: D20100C5 0483CB21
	v_mov_b32_e32 v34, v216                                    // 00000000C130: 7E4403D8
	v_mov_b32_e32 v35, v217                                    // 00000000C134: 7E4603D9
	v_cmp_u_f32_e64 s[78:79], v34, v34                         // 00000000C138: D048004E 00024522
	v_bfe_u32 v228, v34, 16, 1                                 // 00000000C140: D1C800E4 02052122
	v_add3_u32 v228, v34, v228, v231                           // 00000000C148: D1FF00E4 079FC922
	v_cndmask_b32_e64 v32, v228, v230, s[78:79]                // 00000000C150: D1000020 013BCDE4
	v_lshrrev_b32_e32 v32, 16, v32                             // 00000000C158: 20404090
	v_cmp_u_f32_e64 s[78:79], v35, v35                         // 00000000C15C: D048004E 00024723
	v_bfe_u32 v228, v35, 16, 1                                 // 00000000C164: D1C800E4 02052123
	v_add3_u32 v228, v35, v228, v231                           // 00000000C16C: D1FF00E4 079FC923
	v_cndmask_b32_e64 v33, v228, v230, s[78:79]                // 00000000C174: D1000021 013BCDE4
	v_and_or_b32 v198, v33, v229, v32                          // 00000000C17C: D20100C6 0483CB21
	v_mov_b32_e32 v34, v218                                    // 00000000C184: 7E4403DA
	v_mov_b32_e32 v35, v219                                    // 00000000C188: 7E4603DB
	v_cmp_u_f32_e64 s[78:79], v34, v34                         // 00000000C18C: D048004E 00024522
	v_bfe_u32 v228, v34, 16, 1                                 // 00000000C194: D1C800E4 02052122
	v_add3_u32 v228, v34, v228, v231                           // 00000000C19C: D1FF00E4 079FC922
	v_cndmask_b32_e64 v32, v228, v230, s[78:79]                // 00000000C1A4: D1000020 013BCDE4
	v_lshrrev_b32_e32 v32, 16, v32                             // 00000000C1AC: 20404090
	v_cmp_u_f32_e64 s[78:79], v35, v35                         // 00000000C1B0: D048004E 00024723
	v_bfe_u32 v228, v35, 16, 1                                 // 00000000C1B8: D1C800E4 02052123
	v_add3_u32 v228, v35, v228, v231                           // 00000000C1C0: D1FF00E4 079FC923
	v_cndmask_b32_e64 v33, v228, v230, s[78:79]                // 00000000C1C8: D1000021 013BCDE4
	v_and_or_b32 v199, v33, v229, v32                          // 00000000C1D0: D20100C7 0483CB21
	v_mov_b32_e32 v34, v220                                    // 00000000C1D8: 7E4403DC
	v_mov_b32_e32 v35, v221                                    // 00000000C1DC: 7E4603DD
	v_cmp_u_f32_e64 s[78:79], v34, v34                         // 00000000C1E0: D048004E 00024522
	v_bfe_u32 v228, v34, 16, 1                                 // 00000000C1E8: D1C800E4 02052122
	v_add3_u32 v228, v34, v228, v231                           // 00000000C1F0: D1FF00E4 079FC922
	v_cndmask_b32_e64 v32, v228, v230, s[78:79]                // 00000000C1F8: D1000020 013BCDE4
	v_lshrrev_b32_e32 v32, 16, v32                             // 00000000C200: 20404090
	v_cmp_u_f32_e64 s[78:79], v35, v35                         // 00000000C204: D048004E 00024723
	v_bfe_u32 v228, v35, 16, 1                                 // 00000000C20C: D1C800E4 02052123
	v_add3_u32 v228, v35, v228, v231                           // 00000000C214: D1FF00E4 079FC923
	v_cndmask_b32_e64 v33, v228, v230, s[78:79]                // 00000000C21C: D1000021 013BCDE4
	v_and_or_b32 v200, v33, v229, v32                          // 00000000C224: D20100C8 0483CB21
	v_mov_b32_e32 v34, v222                                    // 00000000C22C: 7E4403DE
	v_mov_b32_e32 v35, v223                                    // 00000000C230: 7E4603DF
	v_cmp_u_f32_e64 s[78:79], v34, v34                         // 00000000C234: D048004E 00024522
	v_bfe_u32 v228, v34, 16, 1                                 // 00000000C23C: D1C800E4 02052122
	v_add3_u32 v228, v34, v228, v231                           // 00000000C244: D1FF00E4 079FC922
	v_cndmask_b32_e64 v32, v228, v230, s[78:79]                // 00000000C24C: D1000020 013BCDE4
	v_lshrrev_b32_e32 v32, 16, v32                             // 00000000C254: 20404090
	v_cmp_u_f32_e64 s[78:79], v35, v35                         // 00000000C258: D048004E 00024723
	v_bfe_u32 v228, v35, 16, 1                                 // 00000000C260: D1C800E4 02052123
	v_add3_u32 v228, v35, v228, v231                           // 00000000C268: D1FF00E4 079FC923
	v_cndmask_b32_e64 v33, v228, v230, s[78:79]                // 00000000C270: D1000021 013BCDE4
	v_and_or_b32 v201, v33, v229, v32                          // 00000000C278: D20100C9 0483CB21
	v_mov_b32_e32 v34, v224                                    // 00000000C280: 7E4403E0
	v_mov_b32_e32 v35, v225                                    // 00000000C284: 7E4603E1
	v_cmp_u_f32_e64 s[78:79], v34, v34                         // 00000000C288: D048004E 00024522
	v_bfe_u32 v228, v34, 16, 1                                 // 00000000C290: D1C800E4 02052122
	v_add3_u32 v228, v34, v228, v231                           // 00000000C298: D1FF00E4 079FC922
	v_cndmask_b32_e64 v32, v228, v230, s[78:79]                // 00000000C2A0: D1000020 013BCDE4
	v_lshrrev_b32_e32 v32, 16, v32                             // 00000000C2A8: 20404090
	v_cmp_u_f32_e64 s[78:79], v35, v35                         // 00000000C2AC: D048004E 00024723
	v_bfe_u32 v228, v35, 16, 1                                 // 00000000C2B4: D1C800E4 02052123
	v_add3_u32 v228, v35, v228, v231                           // 00000000C2BC: D1FF00E4 079FC923
	v_cndmask_b32_e64 v33, v228, v230, s[78:79]                // 00000000C2C4: D1000021 013BCDE4
	v_and_or_b32 v202, v33, v229, v32                          // 00000000C2CC: D20100CA 0483CB21
	v_mov_b32_e32 v34, v226                                    // 00000000C2D4: 7E4403E2
	v_mov_b32_e32 v35, v227                                    // 00000000C2D8: 7E4603E3
	v_cmp_u_f32_e64 s[78:79], v34, v34                         // 00000000C2DC: D048004E 00024522
	v_bfe_u32 v228, v34, 16, 1                                 // 00000000C2E4: D1C800E4 02052122
	v_add3_u32 v228, v34, v228, v231                           // 00000000C2EC: D1FF00E4 079FC922
	v_cndmask_b32_e64 v32, v228, v230, s[78:79]                // 00000000C2F4: D1000020 013BCDE4
	v_lshrrev_b32_e32 v32, 16, v32                             // 00000000C2FC: 20404090
	v_cmp_u_f32_e64 s[78:79], v35, v35                         // 00000000C300: D048004E 00024723
	v_bfe_u32 v228, v35, 16, 1                                 // 00000000C308: D1C800E4 02052123
	v_add3_u32 v228, v35, v228, v231                           // 00000000C310: D1FF00E4 079FC923
	v_cndmask_b32_e64 v33, v228, v230, s[78:79]                // 00000000C318: D1000021 013BCDE4
	v_and_or_b32 v203, v33, v229, v32                          // 00000000C320: D20100CB 0483CB21
	ds_write_b64 v27, v[196:197] offset:17408                  // 00000000C328: D89A4400 0000C41B
	ds_write_b64 v27, v[198:199] offset:17952                  // 00000000C330: D89A4620 0000C61B
	ds_write_b64 v27, v[200:201] offset:18496                  // 00000000C338: D89A4840 0000C81B
	ds_write_b64 v27, v[202:203] offset:19040                  // 00000000C340: D89A4A60 0000CA1B
	s_waitcnt lgkmcnt(0)                                       // 00000000C348: BF8CC07F
	s_barrier                                                  // 00000000C34C: BF8A0000
	ds_read_b64 v[196:197], v26 offset:17408                   // 00000000C350: D8EC4400 C400001A
	ds_read_b64 v[198:199], v26 offset:17536                   // 00000000C358: D8EC4480 C600001A
	ds_read_b64 v[200:201], v26 offset:17472                   // 00000000C360: D8EC4440 C800001A
	ds_read_b64 v[202:203], v26 offset:17600                   // 00000000C368: D8EC44C0 CA00001A
	s_waitcnt lgkmcnt(0)                                       // 00000000C370: BF8CC07F
	s_mov_b32 s70, s53                                         // 00000000C374: BEC60035
	buffer_store_dwordx4 v[196:199], v10, s[40:43], 0 idxen    // 00000000C378: E07C2000 800AC40A
	s_mul_i32 s60, 2, s70                                      // 00000000C380: 923C4682
	v_add_u32_e32 v10, s60, v10                                // 00000000C384: 6814143C
	buffer_store_dwordx4 v[200:203], v10, s[40:43], 0 idxen    // 00000000C388: E07C2000 800AC80A
	s_mul_i32 s60, 2, s70                                      // 00000000C390: 923C4682
	v_add_u32_e32 v10, s60, v10                                // 00000000C394: 6814143C
	s_mul_i32 s60, 12, s70                                     // 00000000C398: 923C468C
	v_add_u32_e32 v10, s60, v10                                // 00000000C39C: 6814143C
	s_cmp_ge_i32 3, s72                                        // 00000000C3A0: BF034883
	s_cbranch_scc1 label_210E                                  // 00000000C3A4: BF850000

000000000000c3a8 <label_210E>:
	s_waitcnt vmcnt(0) expcnt(0) lgkmcnt(0)                    // 00000000C3A8: BF8C0000
	s_sub_i32 s60, s77, 1                                      // 00000000C3AC: 81BC814D
	s_sub_i32 s2, s60, s2                                      // 00000000C3B0: 8182023C
	s_addk_i32 s75, 0x1                                        // 00000000C3B4: B74B0001
	s_cmp_lt_i32 s75, s76                                      // 00000000C3B8: BF044C4B
	s_cbranch_scc1 label_0161                                  // 00000000C3BC: BF85E071

000000000000c3c0 <label_2114>:
	s_waitcnt vmcnt(0) expcnt(0) lgkmcnt(0)                    // 00000000C3C0: BF8C0000
	s_endpgm                                                   // 00000000C3C4: BF810000
